;; amdgpu-corpus repo=ROCm/rocFFT kind=compiled arch=gfx1030 opt=O3
	.text
	.amdgcn_target "amdgcn-amd-amdhsa--gfx1030"
	.amdhsa_code_object_version 6
	.protected	bluestein_single_fwd_len1496_dim1_dp_op_CI_CI ; -- Begin function bluestein_single_fwd_len1496_dim1_dp_op_CI_CI
	.globl	bluestein_single_fwd_len1496_dim1_dp_op_CI_CI
	.p2align	8
	.type	bluestein_single_fwd_len1496_dim1_dp_op_CI_CI,@function
bluestein_single_fwd_len1496_dim1_dp_op_CI_CI: ; @bluestein_single_fwd_len1496_dim1_dp_op_CI_CI
; %bb.0:
	v_mul_u32_u24_e32 v1, 0x15f, v0
	s_mov_b64 s[62:63], s[2:3]
	s_mov_b64 s[60:61], s[0:1]
	s_load_dwordx4 s[0:3], s[4:5], 0x28
	s_add_u32 s60, s60, s7
	v_lshrrev_b32_e32 v1, 16, v1
	s_addc_u32 s61, s61, 0
	v_mov_b32_e32 v4, 0
	v_add_nc_u32_e32 v3, s6, v1
	v_mov_b32_e32 v2, v3
	buffer_store_dword v2, off, s[60:63], 0 offset:64 ; 4-byte Folded Spill
	buffer_store_dword v3, off, s[60:63], 0 offset:68 ; 4-byte Folded Spill
	s_waitcnt lgkmcnt(0)
	v_cmp_gt_u64_e32 vcc_lo, s[0:1], v[3:4]
	s_and_saveexec_b32 s0, vcc_lo
	s_cbranch_execz .LBB0_23
; %bb.1:
	v_mul_lo_u16 v1, 0xbb, v1
	s_clause 0x1
	s_load_dwordx2 s[12:13], s[4:5], 0x0
	s_load_dwordx2 s[14:15], s[4:5], 0x38
	v_sub_nc_u16 v0, v0, v1
	v_and_b32_e32 v252, 0xffff, v0
	v_cmp_gt_u16_e32 vcc_lo, 0x58, v0
	v_lshlrev_b32_e32 v255, 4, v252
	v_or_b32_e32 v251, 0x580, v252
	s_and_saveexec_b32 s1, vcc_lo
	s_cbranch_execz .LBB0_3
; %bb.2:
	s_load_dwordx2 s[6:7], s[4:5], 0x18
	s_waitcnt lgkmcnt(0)
	global_load_dwordx4 v[0:3], v255, s[12:13] offset:1408
	v_add_co_u32 v4, s0, s12, v255
	v_add_co_ci_u32_e64 v5, null, s13, 0, s0
	v_lshlrev_b32_e32 v50, 4, v251
	v_add_co_u32 v6, s0, 0x800, v4
	v_add_co_ci_u32_e64 v7, s0, 0, v5, s0
	v_add_co_u32 v14, s0, 0x1000, v4
	v_add_co_ci_u32_e64 v15, s0, 0, v5, s0
	;; [unrolled: 2-line block ×3, first 2 shown]
	v_add_co_u32 v58, s0, 0x2000, v4
	s_load_dwordx4 s[8:11], s[6:7], 0x0
	s_clause 0x1
	buffer_load_dword v8, off, s[60:63], 0 offset:64
	buffer_load_dword v9, off, s[60:63], 0 offset:68
	v_add_co_ci_u32_e64 v59, s0, 0, v5, s0
	v_add_co_u32 v62, s0, 0x2800, v4
	v_add_co_ci_u32_e64 v63, s0, 0, v5, s0
	v_add_co_u32 v70, s0, 0x3000, v4
	;; [unrolled: 2-line block ×4, first 2 shown]
	v_add_co_ci_u32_e64 v91, s0, 0, v5, s0
	s_waitcnt lgkmcnt(0)
	v_mad_u64_u32 v[22:23], null, s8, v252, 0
	v_add_co_u32 v122, s0, 0x4800, v4
	v_add_co_ci_u32_e64 v123, s0, 0, v5, s0
	v_mad_u64_u32 v[46:47], null, s8, v251, 0
	s_waitcnt vmcnt(0)
	v_mov_b32_e32 v9, v23
	s_mul_i32 s6, s9, 0x580
	s_mul_hi_u32 s7, s8, 0x580
	s_add_i32 s7, s7, s6
	v_mov_b32_e32 v10, v8
	v_mad_u64_u32 v[20:21], null, s10, v10, 0
	s_mul_i32 s10, s8, 0x580
	v_mov_b32_e32 v8, v21
	v_mad_u64_u32 v[10:11], null, s11, v10, v[8:9]
	v_mov_b32_e32 v21, v10
	v_mad_u64_u32 v[23:24], null, s9, v252, v[9:10]
	s_clause 0x2
	global_load_dwordx4 v[6:9], v[6:7], off offset:768
	global_load_dwordx4 v[10:13], v[14:15], off offset:128
	;; [unrolled: 1-line block ×3, first 2 shown]
	v_lshlrev_b64 v[20:21], 4, v[20:21]
	v_lshlrev_b64 v[22:23], 4, v[22:23]
	v_add_co_u32 v72, s0, s2, v20
	v_add_co_ci_u32_e64 v73, s0, s3, v21, s0
	v_mov_b32_e32 v20, v47
	v_add_co_u32 v22, s0, v72, v22
	v_add_co_ci_u32_e64 v23, s0, v73, v23, s0
	v_mad_u64_u32 v[24:25], null, s9, v251, v[20:21]
	v_add_co_u32 v26, s0, v22, s10
	v_add_co_ci_u32_e64 v27, s0, s7, v23, s0
	global_load_dwordx4 v[18:21], v[18:19], off offset:896
	v_add_co_u32 v30, s0, v26, s10
	v_add_co_ci_u32_e64 v31, s0, s7, v27, s0
	v_mov_b32_e32 v47, v24
	v_add_co_u32 v34, s0, v30, s10
	v_add_co_ci_u32_e64 v35, s0, s7, v31, s0
	v_lshlrev_b64 v[68:69], 4, v[46:47]
	v_add_co_u32 v38, s0, v34, s10
	v_add_co_ci_u32_e64 v39, s0, s7, v35, s0
	v_add_co_u32 v66, s0, v38, s10
	v_add_co_ci_u32_e64 v67, s0, s7, v39, s0
	v_add_co_u32 v4, s0, 0x5000, v4
	v_add_co_ci_u32_e64 v5, s0, 0, v5, s0
	v_add_co_u32 v74, s0, v72, v68
	v_add_co_ci_u32_e64 v75, s0, v73, v69, s0
	v_add_co_u32 v82, s0, v66, s10
	v_add_co_ci_u32_e64 v83, s0, s7, v67, s0
	s_clause 0x4
	global_load_dwordx4 v[22:25], v[22:23], off
	global_load_dwordx4 v[26:29], v[26:27], off
	;; [unrolled: 1-line block ×6, first 2 shown]
	v_add_co_u32 v94, s0, v82, s10
	v_add_co_ci_u32_e64 v95, s0, s7, v83, s0
	s_clause 0x4
	global_load_dwordx4 v[46:49], v255, s[12:13]
	global_load_dwordx4 v[50:53], v50, s[12:13]
	global_load_dwordx4 v[54:57], v[58:59], off offset:256
	global_load_dwordx4 v[58:61], v[58:59], off offset:1664
	;; [unrolled: 1-line block ×3, first 2 shown]
	v_add_co_u32 v98, s0, v94, s10
	v_add_co_ci_u32_e64 v99, s0, s7, v95, s0
	s_clause 0x1
	global_load_dwordx4 v[66:69], v[70:71], off offset:384
	global_load_dwordx4 v[70:73], v[70:71], off offset:1792
	global_load_dwordx4 v[74:77], v[74:75], off
	global_load_dwordx4 v[78:81], v[78:79], off offset:1152
	v_add_co_u32 v102, s0, v98, s10
	v_add_co_ci_u32_e64 v103, s0, s7, v99, s0
	global_load_dwordx4 v[82:85], v[82:83], off
	v_add_co_u32 v106, s0, v102, s10
	v_add_co_ci_u32_e64 v107, s0, s7, v103, s0
	s_clause 0x1
	global_load_dwordx4 v[86:89], v[90:91], off offset:512
	global_load_dwordx4 v[90:93], v[90:91], off offset:1920
	v_add_co_u32 v110, s0, v106, s10
	v_add_co_ci_u32_e64 v111, s0, s7, v107, s0
	global_load_dwordx4 v[94:97], v[94:95], off
	v_add_co_u32 v114, s0, v110, s10
	v_add_co_ci_u32_e64 v115, s0, s7, v111, s0
	global_load_dwordx4 v[98:101], v[98:99], off
	;; [unrolled: 3-line block ×4, first 2 shown]
	global_load_dwordx4 v[110:113], v[110:111], off
	global_load_dwordx4 v[114:117], v[114:115], off
	v_add_co_u32 v134, s0, v126, s10
	v_add_co_ci_u32_e64 v135, s0, s7, v127, s0
	global_load_dwordx4 v[118:121], v[118:119], off
	global_load_dwordx4 v[122:125], v[122:123], off offset:1280
	global_load_dwordx4 v[126:129], v[126:127], off
	global_load_dwordx4 v[130:133], v[4:5], off offset:640
	global_load_dwordx4 v[134:137], v[134:135], off
	s_waitcnt vmcnt(27)
	v_mul_f64 v[140:141], v[28:29], v[2:3]
	v_mul_f64 v[142:143], v[26:27], v[2:3]
	s_waitcnt vmcnt(26)
	v_mul_f64 v[144:145], v[32:33], v[8:9]
	v_mul_f64 v[146:147], v[30:31], v[8:9]
	s_waitcnt vmcnt(25)
	v_mul_f64 v[148:149], v[36:37], v[12:13]
	s_waitcnt vmcnt(22)
	v_mul_f64 v[4:5], v[24:25], v[48:49]
	v_mul_f64 v[48:49], v[22:23], v[48:49]
	;; [unrolled: 1-line block ×5, first 2 shown]
	s_waitcnt vmcnt(15)
	v_mul_f64 v[138:139], v[76:77], v[52:53]
	v_mul_f64 v[152:153], v[74:75], v[52:53]
	s_waitcnt vmcnt(13)
	v_mul_f64 v[52:53], v[82:83], v[56:57]
	v_fma_f64 v[2:3], v[22:23], v[46:47], v[4:5]
	v_fma_f64 v[4:5], v[24:25], v[46:47], -v[48:49]
	v_mul_f64 v[46:47], v[44:45], v[20:21]
	v_mul_f64 v[48:49], v[42:43], v[20:21]
	v_fma_f64 v[20:21], v[26:27], v[0:1], v[140:141]
	v_fma_f64 v[22:23], v[28:29], v[0:1], -v[142:143]
	v_mul_f64 v[0:1], v[84:85], v[56:57]
	v_fma_f64 v[24:25], v[30:31], v[6:7], v[144:145]
	v_fma_f64 v[26:27], v[32:33], v[6:7], -v[146:147]
	s_waitcnt vmcnt(10)
	v_mul_f64 v[6:7], v[96:97], v[60:61]
	v_mul_f64 v[56:57], v[94:95], v[60:61]
	v_fma_f64 v[28:29], v[34:35], v[10:11], v[148:149]
	v_fma_f64 v[30:31], v[36:37], v[10:11], -v[12:13]
	s_waitcnt vmcnt(9)
	v_mul_f64 v[10:11], v[100:101], v[64:65]
	v_mul_f64 v[60:61], v[98:99], v[64:65]
	s_waitcnt vmcnt(8)
	v_mul_f64 v[64:65], v[104:105], v[68:69]
	v_mul_f64 v[68:69], v[102:103], v[68:69]
	v_fma_f64 v[8:9], v[74:75], v[50:51], v[138:139]
	s_waitcnt vmcnt(7)
	v_mul_f64 v[74:75], v[108:109], v[72:73]
	v_mul_f64 v[72:73], v[106:107], v[72:73]
	s_waitcnt vmcnt(6)
	v_mul_f64 v[138:139], v[112:113], v[80:81]
	v_mul_f64 v[80:81], v[110:111], v[80:81]
	;; [unrolled: 3-line block ×6, first 2 shown]
	v_fma_f64 v[12:13], v[38:39], v[14:15], v[150:151]
	v_fma_f64 v[14:15], v[40:41], v[14:15], -v[16:17]
	v_fma_f64 v[16:17], v[42:43], v[18:19], v[46:47]
	v_fma_f64 v[18:19], v[44:45], v[18:19], -v[48:49]
	;; [unrolled: 2-line block ×12, first 2 shown]
	v_fma_f64 v[10:11], v[76:77], v[50:51], -v[152:153]
	ds_write_b128 v255, v[2:5]
	ds_write_b128 v255, v[20:23] offset:1408
	ds_write_b128 v255, v[24:27] offset:2816
	;; [unrolled: 1-line block ×16, first 2 shown]
.LBB0_3:
	s_or_b32 exec_lo, exec_lo, s1
	s_load_dwordx2 s[0:1], s[4:5], 0x20
                                        ; implicit-def: $vgpr0_vgpr1
	s_waitcnt lgkmcnt(0)
	s_waitcnt_vscnt null, 0x0
	s_barrier
	buffer_gl0_inv
                                        ; implicit-def: $vgpr32_vgpr33
                                        ; implicit-def: $vgpr48_vgpr49
                                        ; implicit-def: $vgpr60_vgpr61
                                        ; implicit-def: $vgpr179_vgpr180
                                        ; implicit-def: $vgpr80_vgpr81
                                        ; implicit-def: $vgpr84_vgpr85
                                        ; implicit-def: $vgpr88_vgpr89
                                        ; implicit-def: $vgpr52_vgpr53
                                        ; implicit-def: $vgpr44_vgpr45
                                        ; implicit-def: $vgpr40_vgpr41
                                        ; implicit-def: $vgpr36_vgpr37
                                        ; implicit-def: $vgpr26_vgpr27
	buffer_store_dword v0, off, s[60:63], 0 offset:72 ; 4-byte Folded Spill
	buffer_store_dword v1, off, s[60:63], 0 offset:76 ; 4-byte Folded Spill
	;; [unrolled: 1-line block ×4, first 2 shown]
                                        ; implicit-def: $vgpr76_vgpr77
                                        ; implicit-def: $vgpr68_vgpr69
                                        ; implicit-def: $vgpr64_vgpr65
                                        ; implicit-def: $vgpr56_vgpr57
	s_and_saveexec_b32 s2, vcc_lo
	s_cbranch_execz .LBB0_5
; %bb.4:
	ds_read_b128 v[32:35], v255
	ds_read_b128 v[56:59], v255 offset:1408
	ds_read_b128 v[48:51], v255 offset:2816
	ds_read_b128 v[64:67], v255 offset:4224
	ds_read_b128 v[68:71], v255 offset:5632
	ds_read_b128 v[60:63], v255 offset:7040
	ds_read_b128 v[76:79], v255 offset:8448
	ds_read_b128 v[179:182], v255 offset:9856
	ds_read_b128 v[80:83], v255 offset:11264
	ds_read_b128 v[84:87], v255 offset:12672
	ds_read_b128 v[88:91], v255 offset:14080
	ds_read_b128 v[52:55], v255 offset:15488
	ds_read_b128 v[44:47], v255 offset:16896
	ds_read_b128 v[40:43], v255 offset:18304
	ds_read_b128 v[36:39], v255 offset:19712
	ds_read_b128 v[26:29], v255 offset:21120
	ds_read_b128 v[0:3], v255 offset:22528
	s_waitcnt lgkmcnt(0)
	buffer_store_dword v0, off, s[60:63], 0 offset:72 ; 4-byte Folded Spill
	buffer_store_dword v1, off, s[60:63], 0 offset:76 ; 4-byte Folded Spill
	;; [unrolled: 1-line block ×4, first 2 shown]
.LBB0_5:
	s_or_b32 exec_lo, exec_lo, s2
	s_clause 0x3
	buffer_load_dword v0, off, s[60:63], 0 offset:72
	buffer_load_dword v1, off, s[60:63], 0 offset:76
	;; [unrolled: 1-line block ×4, first 2 shown]
	v_add_f64 v[112:113], v[48:49], -v[26:27]
	s_mov_b32 s42, 0xeb564b22
	s_mov_b32 s24, 0x923c349f
	;; [unrolled: 1-line block ×6, first 2 shown]
	v_add_f64 v[114:115], v[50:51], -v[28:29]
	s_load_dwordx2 s[2:3], s[4:5], 0x8
	s_mov_b32 s4, 0x370991
	s_mov_b32 s46, 0x2a9d6da3
	s_mov_b32 s5, 0x3fedd6d0
	s_mov_b32 s47, 0xbfe58eea
	v_add_f64 v[104:105], v[48:49], v[26:27]
	s_mov_b32 s6, 0x75d4884
	s_mov_b32 s7, 0x3fe7a5f6
	v_add_f64 v[106:107], v[50:51], v[28:29]
	s_mov_b32 s20, 0x3259b75e
	s_mov_b32 s21, 0x3fb79ee6
	;; [unrolled: 1-line block ×5, first 2 shown]
	v_mul_f64 v[118:119], v[112:113], s[42:43]
	v_mul_f64 v[247:248], v[112:113], s[46:47]
	s_mov_b32 s37, 0xbfeca52d
	s_mov_b32 s8, 0x2b2883cd
	;; [unrolled: 1-line block ×5, first 2 shown]
	v_mul_f64 v[245:246], v[114:115], s[46:47]
	v_mul_f64 v[249:250], v[114:115], s[42:43]
	s_mov_b32 s34, 0xacd6c6b4
	s_mov_b32 s35, 0xbfc7851a
	;; [unrolled: 1-line block ×18, first 2 shown]
	v_add_f64 v[157:158], v[36:37], v[64:65]
	v_add_f64 v[159:160], v[38:39], v[66:67]
	v_fma_f64 v[116:117], v[104:105], s[6:7], v[245:246]
	s_mov_b32 s39, 0x3fc7851a
	s_mov_b32 s38, s34
	v_add_f64 v[185:186], v[40:41], v[68:69]
	v_add_f64 v[189:190], v[42:43], v[70:71]
	s_mov_b32 s53, 0x3fe9895b
	s_mov_b32 s52, s26
	v_add_f64 v[128:129], v[62:63], -v[46:47]
	v_add_f64 v[124:125], v[60:61], -v[44:45]
	v_add_f64 v[215:216], v[60:61], v[44:45]
	v_add_f64 v[219:220], v[62:63], v[46:47]
	v_add_f64 v[132:133], v[78:79], -v[54:55]
	v_add_f64 v[237:238], v[52:53], v[76:77]
	v_add_f64 v[243:244], v[54:55], v[78:79]
	v_add_f64 v[173:174], v[181:182], -v[90:91]
	v_add_f64 v[72:73], v[179:180], v[88:89]
	v_add_f64 v[169:170], v[179:180], -v[88:89]
	;; [unrolled: 2-line block ×3, first 2 shown]
	v_add_f64 v[231:232], v[80:81], -v[84:85]
	v_mul_f64 v[253:254], v[128:129], s[36:37]
	v_mul_f64 v[126:127], v[124:125], s[40:41]
	;; [unrolled: 1-line block ×11, first 2 shown]
	s_waitcnt vmcnt(2)
	v_add_f64 v[108:109], v[0:1], v[56:57]
	v_add_f64 v[0:1], v[56:57], -v[0:1]
	s_waitcnt vmcnt(0)
	v_add_f64 v[110:111], v[2:3], v[58:59]
	v_add_f64 v[2:3], v[58:59], -v[2:3]
	v_mul_f64 v[22:23], v[0:1], s[24:25]
	v_mul_f64 v[140:141], v[0:1], s[40:41]
	;; [unrolled: 1-line block ×16, first 2 shown]
	buffer_store_dword v22, off, s[60:63], 0 offset:468 ; 4-byte Folded Spill
	buffer_store_dword v23, off, s[60:63], 0 offset:472 ; 4-byte Folded Spill
	;; [unrolled: 1-line block ×4, first 2 shown]
	v_fma_f64 v[4:5], v[108:109], s[4:5], v[136:137]
	v_fma_f64 v[6:7], v[110:111], s[4:5], -v[140:141]
	v_fma_f64 v[8:9], v[108:109], s[6:7], v[144:145]
	v_fma_f64 v[10:11], v[110:111], s[6:7], -v[148:149]
	;; [unrolled: 2-line block ×4, first 2 shown]
	v_fma_f64 v[20:21], v[108:109], s[22:23], v[30:31]
	v_fma_f64 v[92:93], v[108:109], s[18:19], v[183:184]
	v_fma_f64 v[94:95], v[110:111], s[18:19], -v[191:192]
	v_fma_f64 v[96:97], v[108:109], s[10:11], v[239:240]
	v_fma_f64 v[98:99], v[110:111], s[10:11], -v[241:242]
	v_fma_f64 v[100:101], v[108:109], s[16:17], -v[2:3]
	v_fma_f64 v[2:3], v[108:109], s[16:17], v[2:3]
	v_fma_f64 v[102:103], v[110:111], s[16:17], v[0:1]
	v_fma_f64 v[0:1], v[110:111], s[16:17], -v[0:1]
	v_add_f64 v[4:5], v[32:33], v[4:5]
	v_add_f64 v[6:7], v[34:35], v[6:7]
	;; [unrolled: 1-line block ×18, first 2 shown]
	v_fma_f64 v[116:117], v[106:107], s[6:7], -v[247:248]
	v_add_f64 v[6:7], v[116:117], v[6:7]
	v_fma_f64 v[116:117], v[104:105], s[20:21], v[249:250]
	v_add_f64 v[8:9], v[116:117], v[8:9]
	v_fma_f64 v[22:23], v[110:111], s[22:23], -v[22:23]
	v_fma_f64 v[116:117], v[106:107], s[20:21], -v[118:119]
	v_mul_f64 v[118:119], v[112:113], s[26:27]
	v_add_f64 v[22:23], v[34:35], v[22:23]
	v_add_f64 v[10:11], v[116:117], v[10:11]
	v_mul_f64 v[116:117], v[114:115], s[26:27]
	buffer_store_dword v116, off, s[60:63], 0 offset:100 ; 4-byte Folded Spill
	buffer_store_dword v117, off, s[60:63], 0 offset:104 ; 4-byte Folded Spill
	buffer_store_dword v118, off, s[60:63], 0 offset:108 ; 4-byte Folded Spill
	buffer_store_dword v119, off, s[60:63], 0 offset:112 ; 4-byte Folded Spill
	v_fma_f64 v[116:117], v[104:105], s[18:19], v[116:117]
	v_add_f64 v[12:13], v[116:117], v[12:13]
	v_fma_f64 v[116:117], v[106:107], s[18:19], -v[118:119]
	v_mul_f64 v[118:119], v[112:113], s[34:35]
	v_add_f64 v[14:15], v[116:117], v[14:15]
	v_mul_f64 v[116:117], v[114:115], s[34:35]
	buffer_store_dword v116, off, s[60:63], 0 offset:116 ; 4-byte Folded Spill
	buffer_store_dword v117, off, s[60:63], 0 offset:120 ; 4-byte Folded Spill
	buffer_store_dword v118, off, s[60:63], 0 offset:124 ; 4-byte Folded Spill
	buffer_store_dword v119, off, s[60:63], 0 offset:128 ; 4-byte Folded Spill
	v_fma_f64 v[116:117], v[104:105], s[16:17], v[116:117]
	v_add_f64 v[16:17], v[116:117], v[16:17]
	v_fma_f64 v[116:117], v[106:107], s[16:17], -v[118:119]
	v_mul_f64 v[118:119], v[112:113], s[50:51]
	;; [unrolled: 10-line block ×4, first 2 shown]
	v_mul_f64 v[112:113], v[112:113], s[44:45]
	v_add_f64 v[94:95], v[116:117], v[94:95]
	v_mul_f64 v[116:117], v[114:115], s[28:29]
	v_mul_f64 v[114:115], v[114:115], s[44:45]
	buffer_store_dword v116, off, s[60:63], 0 offset:164 ; 4-byte Folded Spill
	buffer_store_dword v117, off, s[60:63], 0 offset:168 ; 4-byte Folded Spill
	;; [unrolled: 1-line block ×4, first 2 shown]
	v_fma_f64 v[116:117], v[104:105], s[8:9], v[116:117]
	v_add_f64 v[96:97], v[116:117], v[96:97]
	v_fma_f64 v[116:117], v[106:107], s[8:9], -v[118:119]
	v_add_f64 v[98:99], v[116:117], v[98:99]
	v_fma_f64 v[116:117], v[104:105], s[4:5], -v[114:115]
	v_fma_f64 v[114:115], v[104:105], s[4:5], v[114:115]
	v_add_f64 v[100:101], v[116:117], v[100:101]
	v_fma_f64 v[116:117], v[106:107], s[4:5], v[112:113]
	v_add_f64 v[2:3], v[114:115], v[2:3]
	v_fma_f64 v[112:113], v[106:107], s[4:5], -v[112:113]
	v_add_f64 v[114:115], v[66:67], -v[38:39]
	v_add_f64 v[102:103], v[116:117], v[102:103]
	v_add_f64 v[0:1], v[112:113], v[0:1]
	v_add_f64 v[112:113], v[64:65], -v[36:37]
	v_mul_f64 v[116:117], v[114:115], s[36:37]
	buffer_store_dword v116, off, s[60:63], 0 offset:180 ; 4-byte Folded Spill
	buffer_store_dword v117, off, s[60:63], 0 offset:184 ; 4-byte Folded Spill
	v_mul_f64 v[118:119], v[112:113], s[36:37]
	buffer_store_dword v118, off, s[60:63], 0 offset:188 ; 4-byte Folded Spill
	buffer_store_dword v119, off, s[60:63], 0 offset:192 ; 4-byte Folded Spill
	v_fma_f64 v[116:117], v[157:158], s[8:9], v[116:117]
	v_add_f64 v[4:5], v[116:117], v[4:5]
	v_fma_f64 v[116:117], v[159:160], s[8:9], -v[118:119]
	v_mul_f64 v[118:119], v[112:113], s[26:27]
	v_add_f64 v[6:7], v[116:117], v[6:7]
	v_mul_f64 v[116:117], v[114:115], s[26:27]
	buffer_store_dword v116, off, s[60:63], 0 offset:196 ; 4-byte Folded Spill
	buffer_store_dword v117, off, s[60:63], 0 offset:200 ; 4-byte Folded Spill
	;; [unrolled: 1-line block ×4, first 2 shown]
	v_fma_f64 v[116:117], v[157:158], s[18:19], v[116:117]
	v_add_f64 v[8:9], v[116:117], v[8:9]
	v_fma_f64 v[116:117], v[159:160], s[18:19], -v[118:119]
	v_mul_f64 v[118:119], v[112:113], s[38:39]
	v_add_f64 v[10:11], v[116:117], v[10:11]
	v_mul_f64 v[116:117], v[114:115], s[38:39]
	buffer_store_dword v116, off, s[60:63], 0 offset:204 ; 4-byte Folded Spill
	buffer_store_dword v117, off, s[60:63], 0 offset:208 ; 4-byte Folded Spill
	;; [unrolled: 1-line block ×4, first 2 shown]
	s_mov_b32 s39, 0x3fe58eea
	s_mov_b32 s38, s46
	v_mul_f64 v[199:200], v[173:174], s[38:39]
	v_mul_f64 v[201:202], v[169:170], s[38:39]
	v_fma_f64 v[116:117], v[157:158], s[16:17], v[116:117]
	v_add_f64 v[12:13], v[116:117], v[12:13]
	v_fma_f64 v[116:117], v[159:160], s[16:17], -v[118:119]
	v_mul_f64 v[118:119], v[112:113], s[48:49]
	v_add_f64 v[14:15], v[116:117], v[14:15]
	v_mul_f64 v[116:117], v[114:115], s[48:49]
	buffer_store_dword v116, off, s[60:63], 0 offset:228 ; 4-byte Folded Spill
	buffer_store_dword v117, off, s[60:63], 0 offset:232 ; 4-byte Folded Spill
	buffer_store_dword v118, off, s[60:63], 0 offset:236 ; 4-byte Folded Spill
	buffer_store_dword v119, off, s[60:63], 0 offset:240 ; 4-byte Folded Spill
	v_fma_f64 v[116:117], v[157:158], s[22:23], v[116:117]
	v_add_f64 v[16:17], v[116:117], v[16:17]
	v_fma_f64 v[116:117], v[159:160], s[22:23], -v[118:119]
	v_mul_f64 v[118:119], v[112:113], s[38:39]
	v_add_f64 v[18:19], v[116:117], v[18:19]
	v_mul_f64 v[116:117], v[114:115], s[38:39]
	buffer_store_dword v116, off, s[60:63], 0 offset:244 ; 4-byte Folded Spill
	buffer_store_dword v117, off, s[60:63], 0 offset:248 ; 4-byte Folded Spill
	buffer_store_dword v118, off, s[60:63], 0 offset:252 ; 4-byte Folded Spill
	buffer_store_dword v119, off, s[60:63], 0 offset:256 ; 4-byte Folded Spill
	;; [unrolled: 10-line block ×3, first 2 shown]
	v_fma_f64 v[116:117], v[157:158], s[4:5], v[116:117]
	v_add_f64 v[92:93], v[116:117], v[92:93]
	v_fma_f64 v[116:117], v[159:160], s[4:5], -v[118:119]
	v_mul_f64 v[118:119], v[112:113], s[42:43]
	v_mul_f64 v[112:113], v[112:113], s[30:31]
	v_add_f64 v[94:95], v[116:117], v[94:95]
	v_mul_f64 v[116:117], v[114:115], s[42:43]
	buffer_store_dword v116, off, s[60:63], 0 offset:276 ; 4-byte Folded Spill
	buffer_store_dword v117, off, s[60:63], 0 offset:280 ; 4-byte Folded Spill
	;; [unrolled: 1-line block ×4, first 2 shown]
	v_mul_f64 v[114:115], v[114:115], s[30:31]
	v_fma_f64 v[116:117], v[157:158], s[20:21], v[116:117]
	v_add_f64 v[96:97], v[116:117], v[96:97]
	v_fma_f64 v[116:117], v[159:160], s[20:21], -v[118:119]
	v_add_f64 v[98:99], v[116:117], v[98:99]
	v_fma_f64 v[116:117], v[157:158], s[10:11], -v[114:115]
	v_fma_f64 v[114:115], v[157:158], s[10:11], v[114:115]
	v_add_f64 v[100:101], v[116:117], v[100:101]
	v_fma_f64 v[116:117], v[159:160], s[10:11], v[112:113]
	v_add_f64 v[2:3], v[114:115], v[2:3]
	v_fma_f64 v[112:113], v[159:160], s[10:11], -v[112:113]
	v_add_f64 v[114:115], v[70:71], -v[42:43]
	v_add_f64 v[102:103], v[116:117], v[102:103]
	v_add_f64 v[0:1], v[112:113], v[0:1]
	v_add_f64 v[112:113], v[68:69], -v[40:41]
	v_mul_f64 v[116:117], v[114:115], s[42:43]
	buffer_store_dword v116, off, s[60:63], 0 offset:292 ; 4-byte Folded Spill
	buffer_store_dword v117, off, s[60:63], 0 offset:296 ; 4-byte Folded Spill
	v_mul_f64 v[118:119], v[112:113], s[42:43]
	buffer_store_dword v118, off, s[60:63], 0 offset:300 ; 4-byte Folded Spill
	buffer_store_dword v119, off, s[60:63], 0 offset:304 ; 4-byte Folded Spill
	v_fma_f64 v[116:117], v[185:186], s[20:21], v[116:117]
	v_add_f64 v[4:5], v[116:117], v[4:5]
	v_fma_f64 v[116:117], v[189:190], s[20:21], -v[118:119]
	v_mul_f64 v[118:119], v[112:113], s[34:35]
	v_add_f64 v[6:7], v[116:117], v[6:7]
	v_mul_f64 v[116:117], v[114:115], s[34:35]
	buffer_store_dword v116, off, s[60:63], 0 offset:308 ; 4-byte Folded Spill
	buffer_store_dword v117, off, s[60:63], 0 offset:312 ; 4-byte Folded Spill
	buffer_store_dword v118, off, s[60:63], 0 offset:316 ; 4-byte Folded Spill
	buffer_store_dword v119, off, s[60:63], 0 offset:320 ; 4-byte Folded Spill
	v_fma_f64 v[116:117], v[185:186], s[16:17], v[116:117]
	v_add_f64 v[8:9], v[116:117], v[8:9]
	v_fma_f64 v[116:117], v[189:190], s[16:17], -v[118:119]
	v_mul_f64 v[118:119], v[112:113], s[48:49]
	v_add_f64 v[10:11], v[116:117], v[10:11]
	v_mul_f64 v[116:117], v[114:115], s[48:49]
	buffer_store_dword v116, off, s[60:63], 0 offset:324 ; 4-byte Folded Spill
	buffer_store_dword v117, off, s[60:63], 0 offset:328 ; 4-byte Folded Spill
	;; [unrolled: 10-line block ×5, first 2 shown]
	buffer_store_dword v118, off, s[60:63], 0 offset:380 ; 4-byte Folded Spill
	buffer_store_dword v119, off, s[60:63], 0 offset:384 ; 4-byte Folded Spill
	v_fma_f64 v[116:117], v[185:186], s[10:11], v[116:117]
	v_add_f64 v[92:93], v[116:117], v[92:93]
	v_fma_f64 v[116:117], v[189:190], s[10:11], -v[118:119]
	v_mul_f64 v[118:119], v[112:113], s[52:53]
	v_mul_f64 v[112:113], v[112:113], s[38:39]
	v_add_f64 v[94:95], v[116:117], v[94:95]
	v_mul_f64 v[116:117], v[114:115], s[52:53]
	buffer_store_dword v116, off, s[60:63], 0 offset:388 ; 4-byte Folded Spill
	buffer_store_dword v117, off, s[60:63], 0 offset:392 ; 4-byte Folded Spill
	;; [unrolled: 1-line block ×4, first 2 shown]
	v_mul_f64 v[114:115], v[114:115], s[38:39]
	v_fma_f64 v[116:117], v[185:186], s[18:19], v[116:117]
	v_add_f64 v[96:97], v[116:117], v[96:97]
	v_fma_f64 v[116:117], v[189:190], s[18:19], -v[118:119]
	v_add_f64 v[98:99], v[116:117], v[98:99]
	v_fma_f64 v[116:117], v[185:186], s[6:7], -v[114:115]
	v_fma_f64 v[114:115], v[185:186], s[6:7], v[114:115]
	v_add_f64 v[100:101], v[116:117], v[100:101]
	v_fma_f64 v[116:117], v[189:190], s[6:7], v[112:113]
	v_fma_f64 v[112:113], v[189:190], s[6:7], -v[112:113]
	v_add_f64 v[2:3], v[114:115], v[2:3]
	v_mul_f64 v[114:115], v[124:125], s[24:25]
	v_add_f64 v[102:103], v[116:117], v[102:103]
	v_add_f64 v[0:1], v[112:113], v[0:1]
	v_mul_f64 v[112:113], v[128:129], s[24:25]
	buffer_store_dword v112, off, s[60:63], 0 offset:404 ; 4-byte Folded Spill
	buffer_store_dword v113, off, s[60:63], 0 offset:408 ; 4-byte Folded Spill
	;; [unrolled: 1-line block ×4, first 2 shown]
	v_mul_f64 v[116:117], v[124:125], s[34:35]
	v_fma_f64 v[112:113], v[215:216], s[22:23], v[112:113]
	v_add_f64 v[4:5], v[112:113], v[4:5]
	v_fma_f64 v[112:113], v[219:220], s[22:23], -v[114:115]
	v_mul_f64 v[114:115], v[124:125], s[50:51]
	v_add_f64 v[6:7], v[112:113], v[6:7]
	v_mul_f64 v[112:113], v[128:129], s[50:51]
	buffer_store_dword v112, off, s[60:63], 0 offset:420 ; 4-byte Folded Spill
	buffer_store_dword v113, off, s[60:63], 0 offset:424 ; 4-byte Folded Spill
	;; [unrolled: 1-line block ×4, first 2 shown]
	v_fma_f64 v[112:113], v[215:216], s[10:11], v[112:113]
	v_add_f64 v[8:9], v[112:113], v[8:9]
	v_fma_f64 v[112:113], v[219:220], s[10:11], -v[114:115]
	v_mul_f64 v[114:115], v[124:125], s[38:39]
	v_add_f64 v[10:11], v[112:113], v[10:11]
	v_mul_f64 v[112:113], v[128:129], s[38:39]
	buffer_store_dword v112, off, s[60:63], 0 offset:436 ; 4-byte Folded Spill
	buffer_store_dword v113, off, s[60:63], 0 offset:440 ; 4-byte Folded Spill
	;; [unrolled: 1-line block ×4, first 2 shown]
	v_fma_f64 v[112:113], v[215:216], s[6:7], v[112:113]
	v_add_f64 v[12:13], v[112:113], v[12:13]
	v_fma_f64 v[112:113], v[219:220], s[6:7], -v[114:115]
	v_fma_f64 v[114:115], v[215:216], s[8:9], v[253:254]
	v_add_f64 v[14:15], v[112:113], v[14:15]
	v_mul_f64 v[112:113], v[124:125], s[36:37]
	v_add_f64 v[16:17], v[114:115], v[16:17]
	s_mov_b32 s37, 0x3fefdd0d
	s_mov_b32 s36, s42
	v_mul_f64 v[120:121], v[124:125], s[36:37]
	v_mul_f64 v[124:125], v[124:125], s[26:27]
	v_fma_f64 v[114:115], v[219:220], s[8:9], -v[112:113]
	v_add_f64 v[18:19], v[114:115], v[18:19]
	v_mul_f64 v[114:115], v[128:129], s[34:35]
	v_fma_f64 v[118:119], v[215:216], s[16:17], v[114:115]
	v_add_f64 v[20:21], v[118:119], v[20:21]
	v_fma_f64 v[118:119], v[219:220], s[16:17], -v[116:117]
	v_add_f64 v[22:23], v[118:119], v[22:23]
	v_mul_f64 v[118:119], v[128:129], s[36:37]
	v_fma_f64 v[122:123], v[215:216], s[20:21], v[118:119]
	v_add_f64 v[92:93], v[122:123], v[92:93]
	v_fma_f64 v[122:123], v[219:220], s[20:21], -v[120:121]
	v_add_f64 v[94:95], v[122:123], v[94:95]
	v_mul_f64 v[122:123], v[128:129], s[40:41]
	v_mul_f64 v[128:129], v[128:129], s[26:27]
	v_fma_f64 v[130:131], v[215:216], s[4:5], v[122:123]
	v_add_f64 v[96:97], v[130:131], v[96:97]
	v_fma_f64 v[130:131], v[219:220], s[4:5], -v[126:127]
	v_add_f64 v[98:99], v[130:131], v[98:99]
	v_fma_f64 v[130:131], v[215:216], s[18:19], -v[128:129]
	v_fma_f64 v[128:129], v[215:216], s[18:19], v[128:129]
	v_add_f64 v[100:101], v[130:131], v[100:101]
	v_fma_f64 v[130:131], v[219:220], s[18:19], v[124:125]
	v_fma_f64 v[124:125], v[219:220], s[18:19], -v[124:125]
	v_add_f64 v[2:3], v[128:129], v[2:3]
	v_mul_f64 v[128:129], v[132:133], s[26:27]
	v_add_f64 v[102:103], v[130:131], v[102:103]
	v_add_f64 v[130:131], v[76:77], -v[52:53]
	v_add_f64 v[0:1], v[124:125], v[0:1]
	v_fma_f64 v[134:135], v[237:238], s[18:19], v[128:129]
	v_mul_f64 v[124:125], v[130:131], s[30:31]
	buffer_store_dword v124, off, s[60:63], 0 offset:452 ; 4-byte Folded Spill
	buffer_store_dword v125, off, s[60:63], 0 offset:456 ; 4-byte Folded Spill
	v_mul_f64 v[193:194], v[130:131], s[26:27]
	v_add_f64 v[4:5], v[134:135], v[4:5]
	v_mul_f64 v[203:204], v[130:131], s[48:49]
	v_mul_f64 v[205:206], v[130:131], s[40:41]
	;; [unrolled: 1-line block ×4, first 2 shown]
	v_fma_f64 v[134:135], v[243:244], s[18:19], -v[193:194]
	v_add_f64 v[6:7], v[134:135], v[6:7]
	v_mul_f64 v[134:135], v[132:133], s[48:49]
	v_fma_f64 v[138:139], v[237:238], s[22:23], v[134:135]
	v_add_f64 v[8:9], v[138:139], v[8:9]
	v_fma_f64 v[138:139], v[243:244], s[22:23], -v[203:204]
	v_add_f64 v[10:11], v[138:139], v[10:11]
	v_mul_f64 v[138:139], v[132:133], s[40:41]
	v_fma_f64 v[142:143], v[237:238], s[4:5], v[138:139]
	v_add_f64 v[12:13], v[142:143], v[12:13]
	;; [unrolled: 5-line block ×3, first 2 shown]
	v_fma_f64 v[146:147], v[243:244], s[10:11], -v[124:125]
	v_mul_f64 v[124:125], v[130:131], s[36:37]
	buffer_store_dword v124, off, s[60:63], 0 offset:460 ; 4-byte Folded Spill
	buffer_store_dword v125, off, s[60:63], 0 offset:464 ; 4-byte Folded Spill
	v_add_f64 v[18:19], v[146:147], v[18:19]
	v_mul_f64 v[146:147], v[132:133], s[36:37]
	v_mul_f64 v[132:133], v[132:133], s[28:29]
	;; [unrolled: 1-line block ×3, first 2 shown]
	v_fma_f64 v[150:151], v[237:238], s[20:21], v[146:147]
	v_add_f64 v[20:21], v[150:151], v[20:21]
	v_fma_f64 v[150:151], v[243:244], s[20:21], -v[124:125]
	v_mul_lo_u16 v124, v252, 17
	v_add_f64 v[22:23], v[150:151], v[22:23]
	v_fma_f64 v[150:151], v[237:238], s[6:7], v[154:155]
	v_add_f64 v[92:93], v[150:151], v[92:93]
	v_fma_f64 v[150:151], v[243:244], s[6:7], -v[165:166]
	v_add_f64 v[94:95], v[150:151], v[94:95]
	v_fma_f64 v[150:151], v[237:238], s[16:17], v[177:178]
	v_add_f64 v[96:97], v[150:151], v[96:97]
	v_fma_f64 v[150:151], v[243:244], s[16:17], -v[187:188]
	v_add_f64 v[98:99], v[150:151], v[98:99]
	v_fma_f64 v[150:151], v[237:238], s[8:9], -v[132:133]
	v_fma_f64 v[132:133], v[237:238], s[8:9], v[132:133]
	v_add_f64 v[100:101], v[150:151], v[100:101]
	v_fma_f64 v[150:151], v[243:244], s[8:9], v[130:131]
	v_add_f64 v[2:3], v[132:133], v[2:3]
	v_fma_f64 v[130:131], v[243:244], s[8:9], -v[130:131]
	v_mul_f64 v[132:133], v[173:174], s[52:53]
	v_add_f64 v[102:103], v[150:151], v[102:103]
	v_mul_f64 v[150:151], v[173:174], s[30:31]
	v_add_f64 v[0:1], v[130:131], v[0:1]
	v_mul_f64 v[130:131], v[169:170], s[52:53]
	v_fma_f64 v[161:162], v[72:73], s[10:11], v[150:151]
	v_add_f64 v[4:5], v[161:162], v[4:5]
	v_fma_f64 v[161:162], v[74:75], s[10:11], -v[213:214]
	v_add_f64 v[6:7], v[161:162], v[6:7]
	v_mul_f64 v[161:162], v[173:174], s[28:29]
	v_fma_f64 v[167:168], v[72:73], s[8:9], v[161:162]
	v_add_f64 v[207:208], v[167:168], v[8:9]
	v_fma_f64 v[8:9], v[74:75], s[8:9], -v[221:222]
	v_mul_f64 v[167:168], v[169:170], s[42:43]
	v_add_f64 v[209:210], v[8:9], v[10:11]
	v_fma_f64 v[8:9], v[72:73], s[20:21], v[24:25]
	v_fma_f64 v[10:11], v[74:75], s[20:21], -v[167:168]
	v_add_f64 v[8:9], v[8:9], v[12:13]
	v_fma_f64 v[12:13], v[72:73], s[18:19], v[132:133]
	v_add_f64 v[10:11], v[10:11], v[14:15]
	v_fma_f64 v[14:15], v[74:75], s[18:19], -v[130:131]
	v_add_f64 v[12:13], v[12:13], v[16:17]
	v_mul_f64 v[16:17], v[173:174], s[40:41]
	v_add_f64 v[14:15], v[14:15], v[18:19]
	v_mul_f64 v[18:19], v[169:170], s[40:41]
	buffer_store_dword v16, off, s[60:63], 0 offset:476 ; 4-byte Folded Spill
	buffer_store_dword v17, off, s[60:63], 0 offset:480 ; 4-byte Folded Spill
	buffer_store_dword v18, off, s[60:63], 0 offset:484 ; 4-byte Folded Spill
	buffer_store_dword v19, off, s[60:63], 0 offset:488 ; 4-byte Folded Spill
	v_fma_f64 v[16:17], v[72:73], s[4:5], v[16:17]
	v_fma_f64 v[18:19], v[74:75], s[4:5], -v[18:19]
	v_add_f64 v[16:17], v[16:17], v[20:21]
	v_fma_f64 v[20:21], v[72:73], s[16:17], v[195:196]
	v_add_f64 v[18:19], v[18:19], v[22:23]
	v_fma_f64 v[22:23], v[74:75], s[16:17], -v[197:198]
	v_add_f64 v[20:21], v[20:21], v[92:93]
	v_fma_f64 v[92:93], v[72:73], s[6:7], v[199:200]
	v_add_f64 v[22:23], v[22:23], v[94:95]
	v_fma_f64 v[94:95], v[74:75], s[6:7], -v[201:202]
	v_add_f64 v[92:93], v[92:93], v[96:97]
	v_mul_f64 v[96:97], v[173:174], s[24:25]
	v_add_f64 v[94:95], v[94:95], v[98:99]
	v_add_f64 v[173:174], v[82:83], v[86:87]
	v_fma_f64 v[98:99], v[72:73], s[22:23], -v[96:97]
	v_fma_f64 v[96:97], v[72:73], s[22:23], v[96:97]
	v_add_f64 v[100:101], v[98:99], v[100:101]
	v_mul_f64 v[98:99], v[169:170], s[24:25]
	v_add_f64 v[96:97], v[96:97], v[2:3]
	v_fma_f64 v[2:3], v[74:75], s[22:23], -v[98:99]
	v_fma_f64 v[169:170], v[74:75], s[22:23], v[98:99]
	v_add_f64 v[98:99], v[2:3], v[0:1]
	v_mul_f64 v[0:1], v[233:234], s[34:35]
	v_mul_f64 v[2:3], v[231:232], s[34:35]
	buffer_store_dword v0, off, s[60:63], 0 offset:492 ; 4-byte Folded Spill
	buffer_store_dword v1, off, s[60:63], 0 offset:496 ; 4-byte Folded Spill
	;; [unrolled: 1-line block ×4, first 2 shown]
	v_add_f64 v[102:103], v[169:170], v[102:103]
	v_add_f64 v[169:170], v[80:81], v[84:85]
	v_fma_f64 v[0:1], v[169:170], s[16:17], v[0:1]
	v_fma_f64 v[2:3], v[173:174], s[16:17], -v[2:3]
	v_add_f64 v[0:1], v[0:1], v[4:5]
	v_mul_f64 v[4:5], v[233:234], s[44:45]
	v_add_f64 v[2:3], v[2:3], v[6:7]
	v_mul_f64 v[6:7], v[231:232], s[44:45]
	buffer_store_dword v4, off, s[60:63], 0 offset:508 ; 4-byte Folded Spill
	buffer_store_dword v5, off, s[60:63], 0 offset:512 ; 4-byte Folded Spill
	;; [unrolled: 1-line block ×4, first 2 shown]
	v_fma_f64 v[4:5], v[169:170], s[4:5], v[4:5]
	v_fma_f64 v[6:7], v[173:174], s[4:5], -v[6:7]
	v_add_f64 v[4:5], v[4:5], v[207:208]
	v_mul_f64 v[207:208], v[233:234], s[30:31]
	v_add_f64 v[6:7], v[6:7], v[209:210]
	v_mul_f64 v[209:210], v[231:232], s[30:31]
	buffer_store_dword v4, off, s[60:63], 0 ; 4-byte Folded Spill
	buffer_store_dword v5, off, s[60:63], 0 offset:4 ; 4-byte Folded Spill
	buffer_store_dword v6, off, s[60:63], 0 offset:8 ; 4-byte Folded Spill
	;; [unrolled: 1-line block ×3, first 2 shown]
	v_fma_f64 v[211:212], v[169:170], s[10:11], v[207:208]
	v_add_f64 v[4:5], v[211:212], v[8:9]
	v_fma_f64 v[211:212], v[173:174], s[10:11], -v[209:210]
	v_mul_f64 v[8:9], v[233:234], s[38:39]
	v_add_f64 v[6:7], v[211:212], v[10:11]
	v_mul_f64 v[10:11], v[231:232], s[38:39]
	v_fma_f64 v[217:218], v[169:170], s[6:7], v[8:9]
	buffer_store_dword v4, off, s[60:63], 0 offset:16 ; 4-byte Folded Spill
	buffer_store_dword v5, off, s[60:63], 0 offset:20 ; 4-byte Folded Spill
	;; [unrolled: 1-line block ×4, first 2 shown]
	v_add_f64 v[4:5], v[217:218], v[12:13]
	v_fma_f64 v[217:218], v[173:174], s[6:7], -v[10:11]
	v_mul_f64 v[12:13], v[233:234], s[26:27]
	v_add_f64 v[6:7], v[217:218], v[14:15]
	v_mul_f64 v[14:15], v[231:232], s[26:27]
	v_fma_f64 v[223:224], v[169:170], s[18:19], v[12:13]
	buffer_store_dword v4, off, s[60:63], 0 offset:32 ; 4-byte Folded Spill
	buffer_store_dword v5, off, s[60:63], 0 offset:36 ; 4-byte Folded Spill
	;; [unrolled: 1-line block ×4, first 2 shown]
	v_mul_f64 v[231:232], v[231:232], s[36:37]
	v_add_f64 v[4:5], v[223:224], v[16:17]
	v_fma_f64 v[223:224], v[173:174], s[18:19], -v[14:15]
	v_add_f64 v[6:7], v[223:224], v[18:19]
	v_mul_f64 v[223:224], v[233:234], s[28:29]
	buffer_store_dword v4, off, s[60:63], 0 offset:48 ; 4-byte Folded Spill
	buffer_store_dword v5, off, s[60:63], 0 offset:52 ; 4-byte Folded Spill
	;; [unrolled: 1-line block ×4, first 2 shown]
	v_fma_f64 v[227:228], v[169:170], s[8:9], v[223:224]
	s_waitcnt lgkmcnt(0)
	s_waitcnt_vscnt null, 0x0
	s_barrier
	buffer_gl0_inv
	buffer_store_dword v124, off, s[60:63], 0 offset:88 ; 4-byte Folded Spill
	v_add_f64 v[4:5], v[227:228], v[20:21]
	v_fma_f64 v[227:228], v[173:174], s[8:9], -v[225:226]
	v_add_f64 v[6:7], v[227:228], v[22:23]
	v_mul_f64 v[227:228], v[233:234], s[24:25]
	v_mul_f64 v[233:234], v[233:234], s[36:37]
	v_fma_f64 v[235:236], v[169:170], s[22:23], v[227:228]
	v_add_f64 v[92:93], v[235:236], v[92:93]
	v_fma_f64 v[235:236], v[173:174], s[22:23], -v[229:230]
	v_add_f64 v[94:95], v[235:236], v[94:95]
	v_fma_f64 v[235:236], v[169:170], s[20:21], -v[233:234]
	v_fma_f64 v[233:234], v[169:170], s[20:21], v[233:234]
	v_add_f64 v[100:101], v[235:236], v[100:101]
	v_fma_f64 v[235:236], v[173:174], s[20:21], v[231:232]
	v_fma_f64 v[231:232], v[173:174], s[20:21], -v[231:232]
	v_add_f64 v[96:97], v[233:234], v[96:97]
	v_add_f64 v[102:103], v[235:236], v[102:103]
	;; [unrolled: 1-line block ×3, first 2 shown]
	s_and_saveexec_b32 s24, vcc_lo
	s_cbranch_execz .LBB0_7
; %bb.6:
	v_mov_b32_e32 v23, v9
	v_mov_b32_e32 v22, v8
	s_clause 0x1
	buffer_load_dword v8, off, s[60:63], 0 offset:468
	buffer_load_dword v9, off, s[60:63], 0 offset:472
	v_add_f64 v[58:59], v[34:35], v[58:59]
	v_add_f64 v[56:57], v[32:33], v[56:57]
	v_mul_f64 v[231:232], v[157:158], s[6:7]
	v_mul_f64 v[233:234], v[104:105], s[10:11]
	;; [unrolled: 1-line block ×3, first 2 shown]
	v_mov_b32_e32 v218, v151
	v_mov_b32_e32 v217, v150
	;; [unrolled: 1-line block ×4, first 2 shown]
	v_mul_f64 v[249:250], v[104:105], s[16:17]
	v_mov_b32_e32 v16, v207
	v_mov_b32_e32 v17, v208
	;; [unrolled: 1-line block ×12, first 2 shown]
	v_add_f64 v[50:51], v[50:51], v[58:59]
	v_add_f64 v[48:49], v[48:49], v[56:57]
	v_mul_f64 v[58:59], v[108:109], s[20:21]
	v_mul_f64 v[56:57], v[110:111], s[20:21]
	v_add_f64 v[112:113], v[112:113], v[235:236]
	v_mul_f64 v[235:236], v[189:190], s[4:5]
	v_mov_b32_e32 v19, v11
	v_mov_b32_e32 v18, v10
	;; [unrolled: 1-line block ×4, first 2 shown]
	v_add_f64 v[50:51], v[66:67], v[50:51]
	v_add_f64 v[48:49], v[64:65], v[48:49]
	v_mul_f64 v[66:67], v[108:109], s[6:7]
	v_add_f64 v[58:59], v[58:59], -v[171:172]
	v_mul_f64 v[64:65], v[110:111], s[6:7]
	v_add_f64 v[56:57], v[175:176], v[56:57]
	v_add_f64 v[50:51], v[70:71], v[50:51]
	;; [unrolled: 1-line block ×3, first 2 shown]
	v_mul_f64 v[70:71], v[108:109], s[4:5]
	v_add_f64 v[66:67], v[66:67], -v[144:145]
	v_add_f64 v[58:59], v[32:33], v[58:59]
	v_mul_f64 v[68:69], v[110:111], s[4:5]
	v_add_f64 v[64:65], v[148:149], v[64:65]
	v_add_f64 v[56:57], v[34:35], v[56:57]
	v_mov_b32_e32 v148, v247
	v_mov_b32_e32 v149, v248
	v_mul_f64 v[247:248], v[157:158], s[22:23]
	v_add_f64 v[50:51], v[62:63], v[50:51]
	v_add_f64 v[48:49], v[60:61], v[48:49]
	v_mul_f64 v[62:63], v[108:109], s[8:9]
	v_add_f64 v[70:71], v[70:71], -v[136:137]
	v_add_f64 v[66:67], v[32:33], v[66:67]
	v_mul_f64 v[60:61], v[110:111], s[8:9]
	v_add_f64 v[68:69], v[140:141], v[68:69]
	v_add_f64 v[64:65], v[34:35], v[64:65]
	v_add_f64 v[50:51], v[78:79], v[50:51]
	v_add_f64 v[48:49], v[76:77], v[48:49]
	v_add_f64 v[62:63], v[62:63], -v[152:153]
	v_add_f64 v[70:71], v[32:33], v[70:71]
	v_add_f64 v[60:61], v[163:164], v[60:61]
	;; [unrolled: 1-line block ×6, first 2 shown]
	v_mov_b32_e32 v180, v147
	v_mov_b32_e32 v179, v146
	v_add_f64 v[60:61], v[34:35], v[60:61]
	v_mov_b32_e32 v146, v245
	v_mov_b32_e32 v147, v246
	v_mul_f64 v[245:246], v[215:216], s[8:9]
	v_add_f64 v[50:51], v[82:83], v[50:51]
	v_add_f64 v[48:49], v[80:81], v[48:49]
	v_add_f64 v[245:246], v[245:246], -v[253:254]
	v_mul_f64 v[253:254], v[185:186], s[4:5]
	v_add_f64 v[50:51], v[86:87], v[50:51]
	v_add_f64 v[48:49], v[84:85], v[48:49]
	;; [unrolled: 1-line block ×5, first 2 shown]
	v_mul_f64 v[54:55], v[108:109], s[22:23]
	v_add_f64 v[48:49], v[52:53], v[48:49]
	v_mul_f64 v[52:53], v[110:111], s[22:23]
	v_add_f64 v[46:47], v[46:47], v[50:51]
	v_mul_f64 v[50:51], v[108:109], s[18:19]
	v_add_f64 v[54:55], v[54:55], -v[30:31]
	v_add_f64 v[44:45], v[44:45], v[48:49]
	v_mul_f64 v[48:49], v[110:111], s[18:19]
	v_add_f64 v[42:43], v[42:43], v[46:47]
	v_mul_f64 v[46:47], v[108:109], s[10:11]
	v_add_f64 v[50:51], v[50:51], -v[183:184]
	v_add_f64 v[54:55], v[32:33], v[54:55]
	v_add_f64 v[40:41], v[40:41], v[44:45]
	v_mul_f64 v[44:45], v[110:111], s[10:11]
	v_add_f64 v[48:49], v[191:192], v[48:49]
	v_mov_b32_e32 v184, v143
	v_mov_b32_e32 v183, v142
	;; [unrolled: 1-line block ×4, first 2 shown]
	v_mul_f64 v[251:252], v[219:220], s[6:7]
	v_add_f64 v[46:47], v[46:47], -v[239:240]
	v_add_f64 v[50:51], v[32:33], v[50:51]
	v_mul_f64 v[239:240], v[159:160], s[22:23]
	v_add_f64 v[44:45], v[241:242], v[44:45]
	v_add_f64 v[48:49], v[34:35], v[48:49]
	v_mul_f64 v[241:242], v[106:107], s[16:17]
	v_add_f64 v[46:47], v[32:33], v[46:47]
	v_mul_f64 v[32:33], v[173:174], s[22:23]
	v_add_f64 v[44:45], v[34:35], v[44:45]
	s_waitcnt vmcnt(0)
	v_add_f64 v[52:53], v[8:9], v[52:53]
	v_add_f64 v[8:9], v[38:39], v[42:43]
	v_mul_f64 v[38:39], v[237:238], s[16:17]
	buffer_store_dword v8, off, s[60:63], 0 offset:524 ; 4-byte Folded Spill
	buffer_store_dword v9, off, s[60:63], 0 offset:528 ; 4-byte Folded Spill
	v_add_f64 v[8:9], v[229:230], v[32:33]
	v_add_f64 v[52:53], v[34:35], v[52:53]
	;; [unrolled: 1-line block ×3, first 2 shown]
	v_mul_f64 v[32:33], v[74:75], s[6:7]
	v_add_f64 v[88:89], v[38:39], -v[177:178]
	v_mul_f64 v[38:39], v[215:216], s[4:5]
	v_mul_f64 v[229:230], v[215:216], s[16:17]
	buffer_store_dword v8, off, s[60:63], 0 offset:468 ; 4-byte Folded Spill
	buffer_store_dword v9, off, s[60:63], 0 offset:472 ; 4-byte Folded Spill
	s_clause 0x1
	buffer_load_dword v36, off, s[60:63], 0 offset:396
	buffer_load_dword v37, off, s[60:63], 0 offset:400
	v_add_f64 v[76:77], v[201:202], v[32:33]
	v_mul_f64 v[32:33], v[243:244], s[16:17]
	v_add_f64 v[90:91], v[38:39], -v[122:123]
	v_mul_f64 v[38:39], v[185:186], s[18:19]
	v_mul_f64 v[201:202], v[104:105], s[22:23]
	v_add_f64 v[114:115], v[229:230], -v[114:115]
	v_mul_f64 v[229:230], v[185:186], s[8:9]
	v_add_f64 v[78:79], v[187:188], v[32:33]
	v_mul_f64 v[32:33], v[219:220], s[4:5]
	v_add_f64 v[80:81], v[126:127], v[32:33]
	v_mul_f64 v[32:33], v[189:190], s[18:19]
	s_waitcnt vmcnt(0)
	v_add_f64 v[82:83], v[36:37], v[32:33]
	s_clause 0x1
	buffer_load_dword v36, off, s[60:63], 0 offset:284
	buffer_load_dword v37, off, s[60:63], 0 offset:288
	v_mul_f64 v[32:33], v[159:160], s[20:21]
	s_waitcnt vmcnt(0)
	v_add_f64 v[84:85], v[36:37], v[32:33]
	s_clause 0x1
	buffer_load_dword v36, off, s[60:63], 0 offset:172
	buffer_load_dword v37, off, s[60:63], 0 offset:176
	v_mul_f64 v[32:33], v[106:107], s[8:9]
	s_waitcnt vmcnt(0)
	v_add_f64 v[86:87], v[36:37], v[32:33]
	v_mul_f64 v[32:33], v[169:170], s[22:23]
	v_mul_f64 v[36:37], v[72:73], s[6:7]
	v_add_f64 v[44:45], v[86:87], v[44:45]
	v_add_f64 v[8:9], v[32:33], -v[227:228]
	v_add_f64 v[36:37], v[36:37], -v[199:200]
	v_mul_f64 v[199:200], v[157:158], s[4:5]
	v_mul_f64 v[227:228], v[106:107], s[10:11]
	v_mul_f64 v[86:87], v[237:238], s[4:5]
	buffer_store_dword v8, off, s[60:63], 0 offset:172 ; 4-byte Folded Spill
	buffer_store_dword v9, off, s[60:63], 0 offset:176 ; 4-byte Folded Spill
	s_clause 0x1
	buffer_load_dword v40, off, s[60:63], 0 offset:388
	buffer_load_dword v41, off, s[60:63], 0 offset:392
	v_mov_b32_e32 v9, v7
	v_mov_b32_e32 v8, v6
	;; [unrolled: 1-line block ×10, first 2 shown]
	v_add_f64 v[44:45], v[84:85], v[44:45]
	v_mul_f64 v[84:85], v[243:244], s[22:23]
	v_add_f64 v[86:87], v[86:87], -v[209:210]
	v_add_f64 v[44:45], v[82:83], v[44:45]
	v_add_f64 v[84:85], v[203:204], v[84:85]
	v_mul_f64 v[82:83], v[237:238], s[22:23]
	v_add_f64 v[44:45], v[80:81], v[44:45]
	v_mul_f64 v[80:81], v[243:244], s[18:19]
	v_add_f64 v[82:83], v[82:83], -v[211:212]
	v_add_f64 v[44:45], v[78:79], v[44:45]
	v_mul_f64 v[78:79], v[237:238], s[18:19]
	v_add_f64 v[80:81], v[193:194], v[80:81]
	v_add_f64 v[44:45], v[76:77], v[44:45]
	v_mul_f64 v[76:77], v[74:75], s[4:5]
	v_add_f64 v[78:79], v[78:79], -v[207:208]
	s_waitcnt vmcnt(0)
	v_add_f64 v[108:109], v[38:39], -v[40:41]
	s_clause 0x1
	buffer_load_dword v40, off, s[60:63], 0 offset:276
	buffer_load_dword v41, off, s[60:63], 0 offset:280
	v_mul_f64 v[38:39], v[157:158], s[20:21]
	s_waitcnt vmcnt(0)
	v_add_f64 v[110:111], v[38:39], -v[40:41]
	s_clause 0x3
	buffer_load_dword v40, off, s[60:63], 0 offset:164
	buffer_load_dword v41, off, s[60:63], 0 offset:168
	;; [unrolled: 1-line block ×4, first 2 shown]
	v_mul_f64 v[38:39], v[104:105], s[8:9]
	s_waitcnt vmcnt(2)
	v_add_f64 v[122:123], v[38:39], -v[40:41]
	v_mul_f64 v[40:41], v[74:75], s[16:17]
	v_mul_f64 v[38:39], v[173:174], s[8:9]
	v_add_f64 v[46:47], v[122:123], v[46:47]
	v_add_f64 v[126:127], v[197:198], v[40:41]
	v_mul_f64 v[40:41], v[243:244], s[6:7]
	v_add_f64 v[38:39], v[225:226], v[38:39]
	v_mul_f64 v[225:226], v[159:160], s[6:7]
	;; [unrolled: 2-line block ×4, first 2 shown]
	v_add_f64 v[46:47], v[108:109], v[46:47]
	v_add_f64 v[110:111], v[221:222], v[110:111]
	v_mul_f64 v[108:109], v[72:73], s[20:21]
	v_add_f64 v[120:121], v[120:121], v[40:41]
	v_mul_f64 v[40:41], v[189:190], s[10:11]
	;; [unrolled: 2-line block ×3, first 2 shown]
	v_add_f64 v[108:109], v[108:109], -v[24:25]
	s_waitcnt vmcnt(0)
	v_add_f64 v[177:178], v[42:43], v[40:41]
	s_clause 0x1
	buffer_load_dword v42, off, s[60:63], 0 offset:268
	buffer_load_dword v43, off, s[60:63], 0 offset:272
	v_mul_f64 v[40:41], v[159:160], s[4:5]
	v_add_f64 v[46:47], v[88:89], v[46:47]
	v_add_f64 v[90:91], v[130:131], v[90:91]
	v_mul_f64 v[88:89], v[72:73], s[4:5]
	s_waitcnt vmcnt(0)
	v_add_f64 v[187:188], v[42:43], v[40:41]
	s_clause 0x3
	buffer_load_dword v42, off, s[60:63], 0 offset:156
	buffer_load_dword v43, off, s[60:63], 0 offset:160
	;; [unrolled: 1-line block ×4, first 2 shown]
	v_mul_f64 v[40:41], v[106:107], s[22:23]
	s_waitcnt vmcnt(2)
	v_add_f64 v[197:198], v[42:43], v[40:41]
	v_mul_f64 v[42:43], v[72:73], s[16:17]
	v_mul_f64 v[40:41], v[169:170], s[8:9]
	v_add_f64 v[48:49], v[197:198], v[48:49]
	v_add_f64 v[42:43], v[42:43], -v[195:196]
	v_mul_f64 v[195:196], v[237:238], s[6:7]
	v_add_f64 v[40:41], v[40:41], -v[223:224]
	v_mul_f64 v[223:224], v[219:220], s[16:17]
	v_add_f64 v[48:49], v[187:188], v[48:49]
	v_add_f64 v[154:155], v[195:196], -v[154:155]
	v_mul_f64 v[195:196], v[215:216], s[20:21]
	v_add_f64 v[116:117], v[116:117], v[223:224]
	v_mul_f64 v[223:224], v[189:190], s[8:9]
	v_add_f64 v[48:49], v[177:178], v[48:49]
	v_add_f64 v[118:119], v[195:196], -v[118:119]
	v_mul_f64 v[195:196], v[185:186], s[10:11]
	v_add_f64 v[48:49], v[120:121], v[48:49]
	s_waitcnt vmcnt(0)
	v_add_f64 v[195:196], v[195:196], -v[124:125]
	s_clause 0x1
	buffer_load_dword v124, off, s[60:63], 0 offset:260
	buffer_load_dword v125, off, s[60:63], 0 offset:264
	v_add_f64 v[48:49], v[165:166], v[48:49]
	v_add_f64 v[48:49], v[126:127], v[48:49]
	s_waitcnt vmcnt(0)
	v_add_f64 v[199:200], v[199:200], -v[124:125]
	s_clause 0x1
	buffer_load_dword v124, off, s[60:63], 0 offset:148
	buffer_load_dword v125, off, s[60:63], 0 offset:152
	s_waitcnt vmcnt(0)
	v_add_f64 v[201:202], v[201:202], -v[124:125]
	s_clause 0x1
	buffer_load_dword v124, off, s[60:63], 0 offset:364
	buffer_load_dword v125, off, s[60:63], 0 offset:368
	v_add_f64 v[50:51], v[201:202], v[50:51]
	v_add_f64 v[50:51], v[199:200], v[50:51]
	;; [unrolled: 1-line block ×4, first 2 shown]
	v_mul_f64 v[118:119], v[169:170], s[16:17]
	v_add_f64 v[50:51], v[154:155], v[50:51]
	s_waitcnt vmcnt(0)
	v_add_f64 v[223:224], v[124:125], v[223:224]
	s_clause 0x1
	buffer_load_dword v124, off, s[60:63], 0 offset:252
	buffer_load_dword v125, off, s[60:63], 0 offset:256
	s_waitcnt vmcnt(0)
	v_add_f64 v[225:226], v[124:125], v[225:226]
	s_clause 0x1
	buffer_load_dword v124, off, s[60:63], 0 offset:140
	buffer_load_dword v125, off, s[60:63], 0 offset:144
	;; [unrolled: 5-line block ×3, first 2 shown]
	v_add_f64 v[52:53], v[227:228], v[52:53]
	v_add_f64 v[52:53], v[225:226], v[52:53]
	;; [unrolled: 1-line block ×4, first 2 shown]
	v_mul_f64 v[116:117], v[173:174], s[16:17]
	s_waitcnt vmcnt(0)
	v_add_f64 v[229:230], v[229:230], -v[124:125]
	s_clause 0x1
	buffer_load_dword v124, off, s[60:63], 0 offset:244
	buffer_load_dword v125, off, s[60:63], 0 offset:248
	s_waitcnt vmcnt(0)
	v_add_f64 v[231:232], v[231:232], -v[124:125]
	s_clause 0x1
	buffer_load_dword v124, off, s[60:63], 0 offset:132
	buffer_load_dword v125, off, s[60:63], 0 offset:136
	;; [unrolled: 5-line block ×3, first 2 shown]
	v_add_f64 v[54:55], v[233:234], v[54:55]
	v_add_f64 v[54:55], v[231:232], v[54:55]
	;; [unrolled: 1-line block ×4, first 2 shown]
	v_mov_b32_e32 v115, v15
	v_mov_b32_e32 v114, v14
	s_waitcnt vmcnt(0)
	v_add_f64 v[235:236], v[124:125], v[235:236]
	s_clause 0x1
	buffer_load_dword v124, off, s[60:63], 0 offset:236
	buffer_load_dword v125, off, s[60:63], 0 offset:240
	s_waitcnt vmcnt(0)
	v_add_f64 v[239:240], v[124:125], v[239:240]
	s_clause 0x1
	buffer_load_dword v124, off, s[60:63], 0 offset:124
	buffer_load_dword v125, off, s[60:63], 0 offset:128
	;; [unrolled: 5-line block ×3, first 2 shown]
	v_add_f64 v[56:57], v[241:242], v[56:57]
	v_add_f64 v[56:57], v[239:240], v[56:57]
	;; [unrolled: 1-line block ×4, first 2 shown]
	v_mul_f64 v[112:113], v[74:75], s[10:11]
	v_add_f64 v[112:113], v[213:214], v[112:113]
	s_waitcnt vmcnt(0)
	v_add_f64 v[253:254], v[253:254], -v[124:125]
	s_clause 0x1
	buffer_load_dword v124, off, s[60:63], 0 offset:228
	buffer_load_dword v125, off, s[60:63], 0 offset:232
	s_waitcnt vmcnt(0)
	v_add_f64 v[247:248], v[247:248], -v[124:125]
	s_clause 0x1
	buffer_load_dword v124, off, s[60:63], 0 offset:116
	buffer_load_dword v125, off, s[60:63], 0 offset:120
	;; [unrolled: 5-line block ×3, first 2 shown]
	buffer_load_dword v128, off, s[60:63], 0 offset:332
	buffer_load_dword v129, off, s[60:63], 0 offset:336
	;; [unrolled: 1-line block ×14, first 2 shown]
	v_add_f64 v[58:59], v[249:250], v[58:59]
	v_add_f64 v[58:59], v[247:248], v[58:59]
	;; [unrolled: 1-line block ×4, first 2 shown]
	s_waitcnt vmcnt(14)
	v_add_f64 v[251:252], v[124:125], v[251:252]
	v_mul_f64 v[124:125], v[189:190], s[22:23]
	s_waitcnt vmcnt(12)
	v_add_f64 v[124:125], v[128:129], v[124:125]
	v_mul_f64 v[128:129], v[159:160], s[16:17]
	s_waitcnt vmcnt(10)
	v_add_f64 v[128:129], v[134:135], v[128:129]
	v_mul_f64 v[134:135], v[106:107], s[18:19]
	s_waitcnt vmcnt(8)
	v_add_f64 v[134:135], v[136:137], v[134:135]
	v_mul_f64 v[136:137], v[185:186], s[22:23]
	v_add_f64 v[60:61], v[134:135], v[60:61]
	s_waitcnt vmcnt(6)
	v_add_f64 v[136:137], v[136:137], -v[138:139]
	v_mul_f64 v[138:139], v[104:105], s[18:19]
	v_add_f64 v[60:61], v[128:129], v[60:61]
	s_waitcnt vmcnt(4)
	v_add_f64 v[138:139], v[138:139], -v[140:141]
	v_mul_f64 v[140:141], v[159:160], s[18:19]
	v_mul_f64 v[159:160], v[159:160], s[8:9]
	v_add_f64 v[60:61], v[124:125], v[60:61]
	v_add_f64 v[62:63], v[138:139], v[62:63]
	s_waitcnt vmcnt(2)
	v_add_f64 v[140:141], v[142:143], v[140:141]
	v_mul_f64 v[142:143], v[106:107], s[20:21]
	v_mul_f64 v[106:107], v[106:107], s[6:7]
	v_add_f64 v[60:61], v[251:252], v[60:61]
	v_mov_b32_e32 v252, v192
	v_mov_b32_e32 v251, v191
	s_waitcnt vmcnt(0)
	v_add_f64 v[142:143], v[144:145], v[142:143]
	v_add_f64 v[106:107], v[148:149], v[106:107]
	s_clause 0x1
	buffer_load_dword v148, off, s[60:63], 0 offset:196
	buffer_load_dword v149, off, s[60:63], 0 offset:200
	v_mul_f64 v[144:145], v[104:105], s[20:21]
	v_mul_f64 v[104:105], v[104:105], s[6:7]
	v_add_f64 v[64:65], v[142:143], v[64:65]
	v_add_f64 v[68:69], v[106:107], v[68:69]
	v_mul_f64 v[106:107], v[74:75], s[20:21]
	v_add_f64 v[144:145], v[144:145], -v[150:151]
	v_add_f64 v[104:105], v[104:105], -v[146:147]
	v_mul_f64 v[146:147], v[157:158], s[18:19]
	v_add_f64 v[64:65], v[140:141], v[64:65]
	v_add_f64 v[106:107], v[10:11], v[106:107]
	;; [unrolled: 1-line block ×4, first 2 shown]
	v_mul_f64 v[104:105], v[72:73], s[18:19]
	v_add_f64 v[104:105], v[104:105], -v[132:133]
	s_waitcnt vmcnt(0)
	v_add_f64 v[146:147], v[146:147], -v[148:149]
	s_clause 0x3
	buffer_load_dword v148, off, s[60:63], 0 offset:188
	buffer_load_dword v149, off, s[60:63], 0 offset:192
	;; [unrolled: 1-line block ×4, first 2 shown]
	v_add_f64 v[66:67], v[146:147], v[66:67]
	s_waitcnt vmcnt(2)
	v_add_f64 v[159:160], v[148:149], v[159:160]
	v_mul_f64 v[148:149], v[157:158], s[8:9]
	v_mul_f64 v[156:157], v[157:158], s[16:17]
	v_add_f64 v[68:69], v[159:160], v[68:69]
	s_waitcnt vmcnt(0)
	v_add_f64 v[148:149], v[148:149], -v[150:151]
	s_clause 0x9
	buffer_load_dword v150, off, s[60:63], 0 offset:204
	buffer_load_dword v151, off, s[60:63], 0 offset:208
	;; [unrolled: 1-line block ×10, first 2 shown]
	v_add_f64 v[70:71], v[148:149], v[70:71]
	s_waitcnt vmcnt(8)
	v_add_f64 v[156:157], v[156:157], -v[150:151]
	v_mul_f64 v[150:151], v[189:190], s[16:17]
	v_mul_f64 v[189:190], v[189:190], s[20:21]
	v_add_f64 v[62:63], v[156:157], v[62:63]
	s_waitcnt vmcnt(6)
	v_add_f64 v[150:151], v[152:153], v[150:151]
	v_mul_f64 v[152:153], v[185:186], s[16:17]
	v_mul_f64 v[185:186], v[185:186], s[20:21]
	v_add_f64 v[62:63], v[136:137], v[62:63]
	v_add_f64 v[64:65], v[150:151], v[64:65]
	s_waitcnt vmcnt(0)
	v_add_f64 v[152:153], v[152:153], -v[161:162]
	s_clause 0x1
	buffer_load_dword v161, off, s[60:63], 0 offset:300
	buffer_load_dword v162, off, s[60:63], 0 offset:304
	v_add_f64 v[66:67], v[152:153], v[66:67]
	s_waitcnt vmcnt(0)
	v_add_f64 v[189:190], v[161:162], v[189:190]
	s_clause 0x7
	buffer_load_dword v161, off, s[60:63], 0 offset:292
	buffer_load_dword v162, off, s[60:63], 0 offset:296
	buffer_load_dword v163, off, s[60:63], 0 offset:436
	buffer_load_dword v164, off, s[60:63], 0 offset:440
	buffer_load_dword v167, off, s[60:63], 0 offset:428
	buffer_load_dword v168, off, s[60:63], 0 offset:432
	buffer_load_dword v171, off, s[60:63], 0 offset:420
	buffer_load_dword v172, off, s[60:63], 0 offset:424
	v_add_f64 v[68:69], v[189:190], v[68:69]
	s_waitcnt vmcnt(6)
	v_add_f64 v[185:186], v[185:186], -v[161:162]
	v_mul_f64 v[161:162], v[215:216], s[6:7]
	v_add_f64 v[70:71], v[185:186], v[70:71]
	s_waitcnt vmcnt(4)
	v_add_f64 v[161:162], v[161:162], -v[163:164]
	v_mul_f64 v[163:164], v[219:220], s[10:11]
	v_mul_f64 v[219:220], v[219:220], s[22:23]
	v_add_f64 v[62:63], v[161:162], v[62:63]
	s_waitcnt vmcnt(2)
	v_add_f64 v[163:164], v[167:168], v[163:164]
	v_mul_f64 v[167:168], v[215:216], s[10:11]
	v_mul_f64 v[215:216], v[215:216], s[22:23]
	v_add_f64 v[62:63], v[86:87], v[62:63]
	v_add_f64 v[64:65], v[163:164], v[64:65]
	s_waitcnt vmcnt(0)
	v_add_f64 v[167:168], v[167:168], -v[171:172]
	s_clause 0x1
	buffer_load_dword v171, off, s[60:63], 0 offset:412
	buffer_load_dword v172, off, s[60:63], 0 offset:416
	v_mul_f64 v[86:87], v[169:170], s[6:7]
	v_add_f64 v[74:75], v[108:109], v[62:63]
	v_add_f64 v[64:65], v[84:85], v[64:65]
	v_mul_f64 v[84:85], v[72:73], s[8:9]
	v_add_f64 v[66:67], v[167:168], v[66:67]
	v_add_f64 v[86:87], v[86:87], -v[22:23]
	v_add_f64 v[64:65], v[110:111], v[64:65]
	v_add_f64 v[84:85], v[84:85], -v[0:1]
	v_mov_b32_e32 v0, v2
	v_mov_b32_e32 v1, v3
	;; [unrolled: 1-line block ×8, first 2 shown]
	v_mul_f64 v[110:111], v[169:170], s[4:5]
	v_add_f64 v[66:67], v[82:83], v[66:67]
	v_mul_f64 v[82:83], v[173:174], s[6:7]
	v_add_f64 v[66:67], v[84:85], v[66:67]
	v_add_f64 v[82:83], v[18:19], v[82:83]
	s_waitcnt vmcnt(0)
	v_add_f64 v[219:220], v[171:172], v[219:220]
	s_clause 0x7
	buffer_load_dword v171, off, s[60:63], 0 offset:404
	buffer_load_dword v172, off, s[60:63], 0 offset:408
	;; [unrolled: 1-line block ×8, first 2 shown]
	v_add_f64 v[68:69], v[219:220], v[68:69]
	v_add_f64 v[68:69], v[80:81], v[68:69]
	v_mul_f64 v[80:81], v[72:73], s[10:11]
	v_add_f64 v[72:73], v[26:27], v[34:35]
	v_add_f64 v[68:69], v[112:113], v[68:69]
	v_add_f64 v[80:81], v[80:81], -v[217:218]
	v_add_f64 v[62:63], v[30:31], v[72:73]
	s_waitcnt vmcnt(6)
	v_add_f64 v[215:216], v[215:216], -v[171:172]
	v_mul_f64 v[171:172], v[243:244], s[20:21]
	s_waitcnt vmcnt(0)
	v_add_f64 v[76:77], v[14:15], v[76:77]
	s_clause 0x13
	buffer_load_dword v14, off, s[60:63], 0 offset:476
	buffer_load_dword v15, off, s[60:63], 0 offset:480
	buffer_load_dword v120, off, s[60:63], 0
	buffer_load_dword v121, off, s[60:63], 0 offset:4
	buffer_load_dword v122, off, s[60:63], 0 offset:8
	;; [unrolled: 1-line block ×17, first 2 shown]
	v_add_f64 v[70:71], v[215:216], v[70:71]
	v_add_f64 v[171:172], v[175:176], v[171:172]
	v_mul_f64 v[175:176], v[237:238], s[20:21]
	v_add_f64 v[70:71], v[78:79], v[70:71]
	v_mul_f64 v[78:79], v[173:174], s[18:19]
	v_add_f64 v[175:176], v[175:176], -v[179:180]
	v_mul_f64 v[179:180], v[243:244], s[10:11]
	v_add_f64 v[52:53], v[171:172], v[52:53]
	v_add_f64 v[70:71], v[80:81], v[70:71]
	;; [unrolled: 1-line block ×3, first 2 shown]
	v_mul_f64 v[114:115], v[173:174], s[4:5]
	v_add_f64 v[179:180], v[181:182], v[179:180]
	v_mul_f64 v[181:182], v[237:238], s[10:11]
	v_add_f64 v[54:55], v[175:176], v[54:55]
	v_add_f64 v[52:53], v[76:77], v[52:53]
	v_mul_f64 v[76:77], v[169:170], s[18:19]
	v_add_f64 v[56:57], v[179:180], v[56:57]
	v_add_f64 v[181:182], v[181:182], -v[183:184]
	v_mul_f64 v[183:184], v[243:244], s[4:5]
	v_add_f64 v[76:77], v[76:77], -v[20:21]
	v_add_f64 v[56:57], v[90:91], v[56:57]
	v_add_f64 v[58:59], v[181:182], v[58:59]
	;; [unrolled: 1-line block ×3, first 2 shown]
	v_mul_f64 v[90:91], v[173:174], s[10:11]
	v_add_f64 v[80:81], v[104:105], v[58:59]
	v_add_f64 v[104:105], v[36:37], v[46:47]
	;; [unrolled: 1-line block ×8, first 2 shown]
	v_mul_f64 v[106:107], v[169:170], s[10:11]
	v_add_f64 v[106:107], v[106:107], -v[16:17]
	s_waitcnt vmcnt(18)
	v_add_f64 v[88:89], v[88:89], -v[14:15]
	s_waitcnt vmcnt(0)
	v_add_f64 v[114:115], v[8:9], v[114:115]
	s_clause 0x1
	buffer_load_dword v8, off, s[60:63], 0 offset:508
	buffer_load_dword v9, off, s[60:63], 0 offset:512
	v_add_f64 v[84:85], v[88:89], v[54:55]
	v_add_f64 v[88:89], v[42:43], v[50:51]
	;; [unrolled: 1-line block ×6, first 2 shown]
	s_waitcnt vmcnt(0)
	v_add_f64 v[110:111], v[110:111], -v[8:9]
	s_clause 0x1
	buffer_load_dword v8, off, s[60:63], 0 offset:500
	buffer_load_dword v9, off, s[60:63], 0 offset:504
	v_add_f64 v[54:55], v[110:111], v[66:67]
	s_waitcnt vmcnt(0)
	v_add_f64 v[116:117], v[8:9], v[116:117]
	s_clause 0x1
	buffer_load_dword v8, off, s[60:63], 0 offset:492
	buffer_load_dword v9, off, s[60:63], 0 offset:496
	s_waitcnt vmcnt(0)
	v_add_f64 v[112:113], v[118:119], -v[8:9]
	s_clause 0x1
	buffer_load_dword v8, off, s[60:63], 0 offset:524
	buffer_load_dword v9, off, s[60:63], 0 offset:528
	v_add_f64 v[58:59], v[112:113], v[70:71]
	s_waitcnt vmcnt(0)
	v_add_f64 v[24:25], v[28:29], v[8:9]
	s_clause 0x1
	buffer_load_dword v8, off, s[60:63], 0 offset:468
	buffer_load_dword v9, off, s[60:63], 0 offset:472
	v_add_f64 v[64:65], v[32:33], v[24:25]
	v_mov_b32_e32 v24, 4
	s_waitcnt vmcnt(0)
	v_add_f64 v[28:29], v[8:9], v[44:45]
	s_clause 0x2
	buffer_load_dword v8, off, s[60:63], 0 offset:172
	buffer_load_dword v9, off, s[60:63], 0 offset:176
	;; [unrolled: 1-line block ×3, first 2 shown]
	v_add_f64 v[44:45], v[78:79], v[52:53]
	v_add_f64 v[52:53], v[90:91], v[60:61]
	;; [unrolled: 1-line block ×3, first 2 shown]
	s_waitcnt vmcnt(1)
	v_add_f64 v[26:27], v[8:9], v[104:105]
	s_waitcnt vmcnt(0)
	v_lshlrev_b32_sdwa v24, v24, v25 dst_sel:DWORD dst_unused:UNUSED_PAD src0_sel:DWORD src1_sel:WORD_0
	ds_write_b128 v24, v[62:65]
	ds_write_b128 v24, v[58:61] offset:16
	ds_write_b128 v24, v[54:57] offset:32
	;; [unrolled: 1-line block ×16, first 2 shown]
.LBB0_7:
	s_or_b32 exec_lo, exec_lo, s24
	v_and_b32_e32 v24, 0xff, v252
	s_load_dwordx4 s[4:7], s[0:1], 0x0
	s_waitcnt lgkmcnt(0)
	s_waitcnt_vscnt null, 0x0
	s_barrier
	buffer_gl0_inv
	v_mul_lo_u16 v24, 0xf1, v24
	s_mov_b32 s0, 0x667f3bcd
	s_mov_b32 s1, 0xbfe6a09e
	;; [unrolled: 1-line block ×4, first 2 shown]
	v_lshrrev_b16 v124, 12, v24
	v_mul_lo_u16 v24, v124, 17
	v_sub_nc_u16 v24, v252, v24
	v_and_b32_e32 v125, 0xff, v24
	v_mad_u64_u32 v[24:25], null, 0x70, v125, s[2:3]
	s_clause 0x6
	global_load_dwordx4 v[60:63], v[24:25], off
	global_load_dwordx4 v[56:59], v[24:25], off offset:16
	global_load_dwordx4 v[52:55], v[24:25], off offset:48
	;; [unrolled: 1-line block ×6, first 2 shown]
	ds_read_b128 v[24:27], v255 offset:2992
	ds_read_b128 v[28:31], v255 offset:5984
	;; [unrolled: 1-line block ×7, first 2 shown]
	ds_read_b128 v[64:67], v255
	s_waitcnt vmcnt(0) lgkmcnt(0)
	s_barrier
	buffer_gl0_inv
	v_mul_f64 v[84:85], v[26:27], v[62:63]
	v_mul_f64 v[86:87], v[24:25], v[62:63]
	;; [unrolled: 1-line block ×14, first 2 shown]
	v_fma_f64 v[24:25], v[24:25], v[60:61], -v[84:85]
	v_fma_f64 v[26:27], v[26:27], v[60:61], v[86:87]
	v_fma_f64 v[28:29], v[28:29], v[56:57], -v[88:89]
	v_fma_f64 v[30:31], v[30:31], v[56:57], v[90:91]
	;; [unrolled: 2-line block ×7, first 2 shown]
	v_add_f64 v[32:33], v[64:65], -v[32:33]
	v_add_f64 v[34:35], v[66:67], -v[34:35]
	;; [unrolled: 1-line block ×8, first 2 shown]
	v_fma_f64 v[64:65], v[64:65], 2.0, -v[32:33]
	v_fma_f64 v[66:67], v[66:67], 2.0, -v[34:35]
	;; [unrolled: 1-line block ×6, first 2 shown]
	v_add_f64 v[38:39], v[32:33], -v[38:39]
	v_add_f64 v[36:37], v[34:35], v[36:37]
	v_fma_f64 v[44:45], v[44:45], 2.0, -v[48:49]
	v_fma_f64 v[46:47], v[46:47], 2.0, -v[50:51]
	v_add_f64 v[50:51], v[40:41], -v[50:51]
	v_add_f64 v[48:49], v[42:43], v[48:49]
	v_add_f64 v[28:29], v[64:65], -v[28:29]
	v_add_f64 v[30:31], v[66:67], -v[30:31]
	v_fma_f64 v[112:113], v[32:33], 2.0, -v[38:39]
	v_fma_f64 v[114:115], v[34:35], 2.0, -v[36:37]
	v_add_f64 v[32:33], v[24:25], -v[44:45]
	v_add_f64 v[34:35], v[26:27], -v[46:47]
	v_fma_f64 v[44:45], v[40:41], 2.0, -v[50:51]
	v_fma_f64 v[46:47], v[42:43], 2.0, -v[48:49]
	v_fma_f64 v[40:41], v[50:51], s[8:9], v[38:39]
	v_fma_f64 v[42:43], v[48:49], s[8:9], v[36:37]
	v_fma_f64 v[64:65], v[64:65], 2.0, -v[28:29]
	v_fma_f64 v[66:67], v[66:67], 2.0, -v[30:31]
	;; [unrolled: 1-line block ×4, first 2 shown]
	v_fma_f64 v[88:89], v[44:45], s[0:1], v[112:113]
	v_fma_f64 v[90:91], v[46:47], s[0:1], v[114:115]
	v_add_f64 v[84:85], v[28:29], -v[34:35]
	v_add_f64 v[86:87], v[30:31], v[32:33]
	v_fma_f64 v[108:109], v[48:49], s[0:1], v[40:41]
	v_fma_f64 v[110:111], v[50:51], s[8:9], v[42:43]
	v_add_f64 v[40:41], v[64:65], -v[24:25]
	v_add_f64 v[42:43], v[66:67], -v[26:27]
	v_fma_f64 v[88:89], v[46:47], s[0:1], v[88:89]
	v_fma_f64 v[90:91], v[44:45], s[8:9], v[90:91]
	v_fma_f64 v[32:33], v[28:29], 2.0, -v[84:85]
	v_fma_f64 v[34:35], v[30:31], 2.0, -v[86:87]
	;; [unrolled: 1-line block ×4, first 2 shown]
	v_mov_b32_e32 v24, 0x88
	v_cmp_gt_u16_e64 s0, 0x88, v252
	v_mul_u32_u24_sdwa v24, v124, v24 dst_sel:DWORD dst_unused:UNUSED_PAD src0_sel:WORD_0 src1_sel:DWORD
	v_add_lshl_u32 v148, v24, v125, 4
	v_fma_f64 v[104:105], v[64:65], 2.0, -v[40:41]
	v_fma_f64 v[106:107], v[66:67], 2.0, -v[42:43]
	v_fma_f64 v[36:37], v[112:113], 2.0, -v[88:89]
	v_fma_f64 v[38:39], v[114:115], 2.0, -v[90:91]
	ds_write_b128 v148, v[84:87] offset:1632
	ds_write_b128 v148, v[108:111] offset:1904
	;; [unrolled: 1-line block ×6, first 2 shown]
	ds_write_b128 v148, v[104:107]
	ds_write_b128 v148, v[36:39] offset:272
	s_waitcnt lgkmcnt(0)
	s_barrier
	buffer_gl0_inv
	s_and_saveexec_b32 s1, s0
	s_cbranch_execz .LBB0_9
; %bb.8:
	ds_read_b128 v[104:107], v255
	ds_read_b128 v[36:39], v255 offset:2176
	ds_read_b128 v[32:35], v255 offset:4352
	;; [unrolled: 1-line block ×10, first 2 shown]
.LBB0_9:
	s_or_b32 exec_lo, exec_lo, s1
	v_add_nc_u32_e32 v24, 0xffffff78, v252
	s_mov_b32 s24, 0xf8bb580b
	s_mov_b32 s8, 0x43842ef
	;; [unrolled: 1-line block ×4, first 2 shown]
	v_cndmask_b32_e64 v24, v24, v252, s0
	s_mov_b32 s25, 0xbfe14ced
	s_mov_b32 s11, 0xbfed1bb4
	;; [unrolled: 1-line block ×4, first 2 shown]
	v_mul_hi_i32_i24_e32 v25, 0xa0, v24
	v_mul_i32_i24_e32 v24, 0xa0, v24
	s_mov_b32 s21, 0xbfe82f19
	s_mov_b32 s27, 0xbfd207e7
	;; [unrolled: 1-line block ×4, first 2 shown]
	v_add_co_u32 v134, s1, s2, v24
	v_add_co_ci_u32_e64 v135, s1, s3, v25, s1
	s_mov_b32 s2, 0x640f44db
	s_mov_b32 s22, 0x7f775887
	s_clause 0x3
	global_load_dwordx4 v[28:31], v[134:135], off offset:1952
	global_load_dwordx4 v[24:27], v[134:135], off offset:1936
	;; [unrolled: 1-line block ×4, first 2 shown]
	s_mov_b32 s28, 0x9bcd5057
	s_mov_b32 s19, 0x3feaeb8c
	;; [unrolled: 1-line block ×12, first 2 shown]
	s_waitcnt vmcnt(0) lgkmcnt(9)
	v_mul_f64 v[112:113], v[38:39], v[66:67]
	v_fma_f64 v[136:137], v[36:37], v[64:65], -v[112:113]
	v_mul_f64 v[36:37], v[36:37], v[66:67]
	v_fma_f64 v[138:139], v[38:39], v[64:65], v[36:37]
	s_waitcnt lgkmcnt(8)
	v_mul_f64 v[36:37], v[34:35], v[50:51]
	v_fma_f64 v[132:133], v[32:33], v[48:49], -v[36:37]
	v_mul_f64 v[32:33], v[32:33], v[50:51]
	v_fma_f64 v[130:131], v[34:35], v[48:49], v[32:33]
	s_waitcnt lgkmcnt(7)
	;; [unrolled: 5-line block ×3, first 2 shown]
	v_mul_f64 v[32:33], v[42:43], v[30:31]
	v_fma_f64 v[122:123], v[40:41], v[28:29], -v[32:33]
	v_mul_f64 v[32:33], v[40:41], v[30:31]
	v_fma_f64 v[120:121], v[42:43], v[28:29], v[32:33]
	s_clause 0x3
	global_load_dwordx4 v[32:35], v[134:135], off offset:2016
	global_load_dwordx4 v[36:39], v[134:135], off offset:2000
	;; [unrolled: 1-line block ×4, first 2 shown]
	s_waitcnt vmcnt(0) lgkmcnt(5)
	v_mul_f64 v[112:113], v[90:91], v[46:47]
	v_fma_f64 v[116:117], v[88:89], v[44:45], -v[112:113]
	v_mul_f64 v[88:89], v[88:89], v[46:47]
	v_fma_f64 v[112:113], v[90:91], v[44:45], v[88:89]
	s_waitcnt lgkmcnt(4)
	v_mul_f64 v[88:89], v[86:87], v[42:43]
	v_fma_f64 v[118:119], v[84:85], v[40:41], -v[88:89]
	v_mul_f64 v[84:85], v[84:85], v[42:43]
	v_fma_f64 v[114:115], v[86:87], v[40:41], v[84:85]
	s_waitcnt lgkmcnt(3)
	;; [unrolled: 5-line block ×3, first 2 shown]
	v_mul_f64 v[84:85], v[102:103], v[34:35]
	v_fma_f64 v[110:111], v[100:101], v[32:33], -v[84:85]
	v_mul_f64 v[84:85], v[100:101], v[34:35]
	v_fma_f64 v[100:101], v[102:103], v[32:33], v[84:85]
	v_add_co_u32 v84, s1, 0x7f0, v134
	v_add_co_ci_u32_e64 v85, s1, 0, v135, s1
	s_clause 0x1
	global_load_dwordx4 v[84:87], v[84:85], off offset:16
	global_load_dwordx4 v[88:91], v[134:135], off offset:2032
	s_waitcnt vmcnt(0) lgkmcnt(1)
	v_mul_f64 v[102:103], v[98:99], v[90:91]
	v_fma_f64 v[102:103], v[96:97], v[88:89], -v[102:103]
	v_mul_f64 v[96:97], v[96:97], v[90:91]
	v_fma_f64 v[96:97], v[98:99], v[88:89], v[96:97]
	s_waitcnt lgkmcnt(0)
	v_mul_f64 v[98:99], v[94:95], v[86:87]
	v_fma_f64 v[98:99], v[92:93], v[84:85], -v[98:99]
	v_mul_f64 v[92:93], v[92:93], v[86:87]
	v_add_f64 v[140:141], v[136:137], v[98:99]
	v_fma_f64 v[134:135], v[94:95], v[84:85], v[92:93]
	v_add_f64 v[94:95], v[106:107], v[138:139]
	v_add_f64 v[92:93], v[104:105], v[136:137]
	;; [unrolled: 1-line block ×20, first 2 shown]
	v_add_f64 v[134:135], v[138:139], -v[134:135]
	v_add_f64 v[92:93], v[92:93], v[98:99]
	v_add_f64 v[98:99], v[136:137], -v[98:99]
	v_mul_f64 v[136:137], v[134:135], s[24:25]
	v_mul_f64 v[149:150], v[134:135], s[10:11]
	v_mul_f64 v[157:158], v[134:135], s[8:9]
	v_mul_f64 v[165:166], v[134:135], s[20:21]
	v_mul_f64 v[134:135], v[134:135], s[26:27]
	v_mul_f64 v[144:145], v[98:99], s[24:25]
	v_mul_f64 v[153:154], v[98:99], s[10:11]
	v_mul_f64 v[161:162], v[98:99], s[8:9]
	v_mul_f64 v[169:170], v[98:99], s[20:21]
	v_mul_f64 v[98:99], v[98:99], s[26:27]
	v_fma_f64 v[138:139], v[140:141], s[18:19], -v[136:137]
	v_fma_f64 v[136:137], v[140:141], s[18:19], v[136:137]
	v_fma_f64 v[151:152], v[140:141], s[16:17], -v[149:150]
	v_fma_f64 v[149:150], v[140:141], s[16:17], v[149:150]
	v_fma_f64 v[159:160], v[140:141], s[2:3], -v[157:158]
	v_fma_f64 v[157:158], v[140:141], s[2:3], v[157:158]
	v_fma_f64 v[167:168], v[140:141], s[22:23], -v[165:166]
	v_fma_f64 v[165:166], v[140:141], s[22:23], v[165:166]
	v_fma_f64 v[173:174], v[140:141], s[28:29], -v[134:135]
	v_fma_f64 v[134:135], v[140:141], s[28:29], v[134:135]
	v_fma_f64 v[146:147], v[142:143], s[18:19], v[144:145]
	v_fma_f64 v[144:145], v[142:143], s[18:19], -v[144:145]
	v_fma_f64 v[155:156], v[142:143], s[16:17], v[153:154]
	v_fma_f64 v[153:154], v[142:143], s[16:17], -v[153:154]
	;; [unrolled: 2-line block ×5, first 2 shown]
	v_add_f64 v[138:139], v[104:105], v[138:139]
	v_add_f64 v[136:137], v[104:105], v[136:137]
	;; [unrolled: 1-line block ×11, first 2 shown]
	v_add_f64 v[96:97], v[130:131], -v[96:97]
	v_add_f64 v[146:147], v[106:107], v[146:147]
	v_add_f64 v[144:145], v[106:107], v[144:145]
	;; [unrolled: 1-line block ×11, first 2 shown]
	v_add_f64 v[102:103], v[132:133], -v[102:103]
	v_mul_f64 v[130:131], v[96:97], s[10:11]
	v_fma_f64 v[132:133], v[106:107], s[16:17], -v[130:131]
	v_fma_f64 v[130:131], v[106:107], s[16:17], v[130:131]
	v_add_f64 v[132:133], v[132:133], v[138:139]
	v_mul_f64 v[138:139], v[102:103], s[10:11]
	v_add_f64 v[130:131], v[130:131], v[136:137]
	s_mov_b32 s11, 0x3fed1bb4
	v_fma_f64 v[140:141], v[134:135], s[16:17], v[138:139]
	v_fma_f64 v[136:137], v[134:135], s[16:17], -v[138:139]
	v_mul_f64 v[138:139], v[96:97], s[20:21]
	v_add_f64 v[140:141], v[140:141], v[146:147]
	v_add_f64 v[136:137], v[136:137], v[144:145]
	v_fma_f64 v[142:143], v[106:107], s[22:23], -v[138:139]
	v_fma_f64 v[138:139], v[106:107], s[22:23], v[138:139]
	v_mul_f64 v[144:145], v[102:103], s[20:21]
	v_add_f64 v[142:143], v[142:143], v[151:152]
	v_add_f64 v[138:139], v[138:139], v[149:150]
	v_mul_f64 v[149:150], v[96:97], s[36:37]
	v_fma_f64 v[146:147], v[134:135], s[22:23], v[144:145]
	v_fma_f64 v[144:145], v[134:135], s[22:23], -v[144:145]
	v_fma_f64 v[151:152], v[106:107], s[28:29], -v[149:150]
	v_fma_f64 v[149:150], v[106:107], s[28:29], v[149:150]
	v_add_f64 v[144:145], v[144:145], v[153:154]
	v_mul_f64 v[153:154], v[102:103], s[36:37]
	v_add_f64 v[146:147], v[146:147], v[155:156]
	v_add_f64 v[151:152], v[151:152], v[159:160]
	;; [unrolled: 1-line block ×3, first 2 shown]
	v_mul_f64 v[157:158], v[96:97], s[34:35]
	v_fma_f64 v[155:156], v[134:135], s[28:29], v[153:154]
	v_fma_f64 v[153:154], v[134:135], s[28:29], -v[153:154]
	v_mul_f64 v[96:97], v[96:97], s[30:31]
	v_fma_f64 v[159:160], v[106:107], s[2:3], -v[157:158]
	v_fma_f64 v[157:158], v[106:107], s[2:3], v[157:158]
	v_add_f64 v[153:154], v[153:154], v[161:162]
	v_mul_f64 v[161:162], v[102:103], s[34:35]
	v_mul_f64 v[102:103], v[102:103], s[30:31]
	v_add_f64 v[155:156], v[155:156], v[163:164]
	v_add_f64 v[159:160], v[159:160], v[167:168]
	;; [unrolled: 1-line block ×3, first 2 shown]
	v_fma_f64 v[165:166], v[106:107], s[18:19], -v[96:97]
	v_fma_f64 v[96:97], v[106:107], s[18:19], v[96:97]
	v_fma_f64 v[167:168], v[134:135], s[18:19], v[102:103]
	v_fma_f64 v[102:103], v[134:135], s[18:19], -v[102:103]
	v_add_f64 v[106:107], v[128:129], -v[110:111]
	v_fma_f64 v[163:164], v[134:135], s[2:3], v[161:162]
	v_fma_f64 v[161:162], v[134:135], s[2:3], -v[161:162]
	v_add_f64 v[165:166], v[165:166], v[173:174]
	v_add_f64 v[96:97], v[96:97], v[104:105]
	;; [unrolled: 1-line block ×3, first 2 shown]
	v_add_f64 v[100:101], v[126:127], -v[100:101]
	v_add_f64 v[98:99], v[102:103], v[98:99]
	v_add_f64 v[102:103], v[128:129], v[110:111]
	v_mul_f64 v[128:129], v[106:107], s[8:9]
	v_add_f64 v[163:164], v[163:164], v[171:172]
	v_add_f64 v[161:162], v[161:162], v[169:170]
	v_add_f64 v[167:168], v[167:168], v[175:176]
	v_mul_f64 v[110:111], v[100:101], s[8:9]
	v_fma_f64 v[126:127], v[102:103], s[2:3], -v[110:111]
	v_fma_f64 v[110:111], v[102:103], s[2:3], v[110:111]
	v_add_f64 v[126:127], v[126:127], v[132:133]
	v_add_f64 v[110:111], v[110:111], v[130:131]
	v_mul_f64 v[130:131], v[100:101], s[36:37]
	v_fma_f64 v[132:133], v[104:105], s[2:3], v[128:129]
	v_fma_f64 v[128:129], v[104:105], s[2:3], -v[128:129]
	v_fma_f64 v[134:135], v[102:103], s[28:29], -v[130:131]
	v_fma_f64 v[130:131], v[102:103], s[28:29], v[130:131]
	v_add_f64 v[128:129], v[128:129], v[136:137]
	v_mul_f64 v[136:137], v[106:107], s[36:37]
	v_add_f64 v[132:133], v[132:133], v[140:141]
	v_add_f64 v[134:135], v[134:135], v[142:143]
	;; [unrolled: 1-line block ×3, first 2 shown]
	v_mul_f64 v[138:139], v[100:101], s[10:11]
	v_fma_f64 v[140:141], v[104:105], s[28:29], v[136:137]
	v_fma_f64 v[136:137], v[104:105], s[28:29], -v[136:137]
	v_fma_f64 v[142:143], v[102:103], s[16:17], -v[138:139]
	v_fma_f64 v[138:139], v[102:103], s[16:17], v[138:139]
	v_add_f64 v[136:137], v[136:137], v[144:145]
	v_mul_f64 v[144:145], v[106:107], s[10:11]
	v_add_f64 v[140:141], v[140:141], v[146:147]
	v_add_f64 v[142:143], v[142:143], v[151:152]
	;; [unrolled: 1-line block ×3, first 2 shown]
	v_mul_f64 v[149:150], v[100:101], s[24:25]
	v_fma_f64 v[146:147], v[104:105], s[16:17], v[144:145]
	v_fma_f64 v[144:145], v[104:105], s[16:17], -v[144:145]
	v_mul_f64 v[100:101], v[100:101], s[20:21]
	v_fma_f64 v[151:152], v[102:103], s[18:19], -v[149:150]
	v_fma_f64 v[149:150], v[102:103], s[18:19], v[149:150]
	v_add_f64 v[144:145], v[144:145], v[153:154]
	v_mul_f64 v[153:154], v[106:107], s[24:25]
	v_mul_f64 v[106:107], v[106:107], s[20:21]
	v_add_f64 v[146:147], v[146:147], v[155:156]
	v_add_f64 v[151:152], v[151:152], v[159:160]
	;; [unrolled: 1-line block ×3, first 2 shown]
	v_fma_f64 v[157:158], v[102:103], s[22:23], -v[100:101]
	v_fma_f64 v[100:101], v[102:103], s[22:23], v[100:101]
	v_fma_f64 v[159:160], v[104:105], s[22:23], v[106:107]
	;; [unrolled: 1-line block ×3, first 2 shown]
	v_fma_f64 v[153:154], v[104:105], s[18:19], -v[153:154]
	v_add_f64 v[102:103], v[120:121], v[108:109]
	v_add_f64 v[157:158], v[157:158], v[165:166]
	;; [unrolled: 1-line block ×3, first 2 shown]
	v_fma_f64 v[100:101], v[104:105], s[22:23], -v[106:107]
	v_add_f64 v[106:107], v[120:121], -v[108:109]
	v_add_f64 v[104:105], v[122:123], -v[124:125]
	v_add_f64 v[155:156], v[155:156], v[163:164]
	v_add_f64 v[153:154], v[153:154], v[161:162]
	;; [unrolled: 1-line block ×5, first 2 shown]
	v_mul_f64 v[108:109], v[106:107], s[20:21]
	v_mul_f64 v[122:123], v[104:105], s[20:21]
	v_fma_f64 v[120:121], v[100:101], s[22:23], -v[108:109]
	v_fma_f64 v[108:109], v[100:101], s[22:23], v[108:109]
	v_fma_f64 v[124:125], v[102:103], s[22:23], v[122:123]
	v_add_f64 v[120:121], v[120:121], v[126:127]
	v_add_f64 v[108:109], v[108:109], v[110:111]
	v_fma_f64 v[110:111], v[102:103], s[22:23], -v[122:123]
	v_add_f64 v[124:125], v[124:125], v[132:133]
	v_mul_f64 v[122:123], v[106:107], s[34:35]
	v_add_f64 v[110:111], v[110:111], v[128:129]
	v_mul_f64 v[128:129], v[104:105], s[34:35]
	v_fma_f64 v[126:127], v[100:101], s[2:3], -v[122:123]
	v_fma_f64 v[122:123], v[100:101], s[2:3], v[122:123]
	v_fma_f64 v[132:133], v[102:103], s[2:3], v[128:129]
	v_fma_f64 v[128:129], v[102:103], s[2:3], -v[128:129]
	v_add_f64 v[122:123], v[122:123], v[130:131]
	v_add_f64 v[126:127], v[126:127], v[134:135]
	;; [unrolled: 1-line block ×4, first 2 shown]
	v_mul_f64 v[128:129], v[106:107], s[24:25]
	v_add_f64 v[140:141], v[116:117], -v[118:119]
	v_add_f64 v[136:137], v[112:113], v[114:115]
	v_fma_f64 v[130:131], v[100:101], s[18:19], -v[128:129]
	v_fma_f64 v[128:129], v[100:101], s[18:19], v[128:129]
	v_add_f64 v[142:143], v[130:131], v[142:143]
	v_mul_f64 v[130:131], v[104:105], s[24:25]
	v_add_f64 v[165:166], v[128:129], v[138:139]
	v_add_f64 v[138:139], v[116:117], v[118:119]
	v_fma_f64 v[128:129], v[102:103], s[18:19], -v[130:131]
	v_fma_f64 v[132:133], v[102:103], s[18:19], v[130:131]
	v_add_f64 v[144:145], v[128:129], v[144:145]
	v_mul_f64 v[128:129], v[106:107], s[26:27]
	v_mul_f64 v[106:107], v[106:107], s[10:11]
	v_add_f64 v[146:147], v[132:133], v[146:147]
	v_fma_f64 v[130:131], v[100:101], s[28:29], -v[128:129]
	v_fma_f64 v[128:129], v[100:101], s[28:29], v[128:129]
	v_add_f64 v[151:152], v[130:131], v[151:152]
	v_mul_f64 v[130:131], v[104:105], s[26:27]
	v_add_f64 v[149:150], v[128:129], v[149:150]
	v_mul_f64 v[104:105], v[104:105], s[10:11]
	v_fma_f64 v[128:129], v[102:103], s[28:29], -v[130:131]
	v_fma_f64 v[132:133], v[102:103], s[28:29], v[130:131]
	v_fma_f64 v[130:131], v[102:103], s[16:17], v[104:105]
	v_add_f64 v[153:154], v[128:129], v[153:154]
	v_fma_f64 v[128:129], v[100:101], s[16:17], -v[106:107]
	v_fma_f64 v[100:101], v[100:101], s[16:17], v[106:107]
	v_add_f64 v[155:156], v[132:133], v[155:156]
	v_add_f64 v[130:131], v[130:131], v[159:160]
	;; [unrolled: 1-line block ×4, first 2 shown]
	v_fma_f64 v[96:97], v[102:103], s[16:17], -v[104:105]
	v_add_f64 v[157:158], v[112:113], -v[114:115]
	v_add_f64 v[134:135], v[96:97], v[98:99]
	v_mul_f64 v[96:97], v[157:158], s[26:27]
	v_mul_f64 v[112:113], v[157:158], s[20:21]
	;; [unrolled: 1-line block ×3, first 2 shown]
	v_fma_f64 v[98:99], v[138:139], s[28:29], -v[96:97]
	v_fma_f64 v[114:115], v[138:139], s[22:23], -v[112:113]
	v_fma_f64 v[96:97], v[138:139], s[28:29], v[96:97]
	v_fma_f64 v[106:107], v[138:139], s[18:19], -v[104:105]
	v_fma_f64 v[104:105], v[138:139], s[18:19], v[104:105]
	v_fma_f64 v[112:113], v[138:139], s[22:23], v[112:113]
	v_add_f64 v[100:101], v[98:99], v[120:121]
	v_mul_f64 v[98:99], v[140:141], s[26:27]
	v_add_f64 v[96:97], v[96:97], v[108:109]
	v_add_f64 v[108:109], v[106:107], v[126:127]
	v_mul_f64 v[106:107], v[140:141], s[30:31]
	v_add_f64 v[104:105], v[104:105], v[122:123]
	v_add_f64 v[112:113], v[112:113], v[165:166]
	v_fma_f64 v[102:103], v[136:137], s[28:29], v[98:99]
	v_fma_f64 v[98:99], v[136:137], s[28:29], -v[98:99]
	v_add_f64 v[102:103], v[102:103], v[124:125]
	v_add_f64 v[124:125], v[114:115], v[142:143]
	v_mul_f64 v[114:115], v[140:141], s[20:21]
	v_mul_f64 v[142:143], v[157:158], s[8:9]
	v_add_f64 v[98:99], v[98:99], v[110:111]
	v_fma_f64 v[110:111], v[136:137], s[18:19], v[106:107]
	v_fma_f64 v[106:107], v[136:137], s[18:19], -v[106:107]
	v_fma_f64 v[116:117], v[136:137], s[22:23], v[114:115]
	v_fma_f64 v[114:115], v[136:137], s[22:23], -v[114:115]
	v_add_f64 v[110:111], v[110:111], v[161:162]
	v_add_f64 v[106:107], v[106:107], v[163:164]
	;; [unrolled: 1-line block ×3, first 2 shown]
	v_mul_f64 v[116:117], v[157:158], s[10:11]
	v_add_f64 v[114:115], v[114:115], v[144:145]
	v_fma_f64 v[144:145], v[138:139], s[2:3], -v[142:143]
	v_fma_f64 v[118:119], v[138:139], s[16:17], -v[116:117]
	v_fma_f64 v[116:117], v[138:139], s[16:17], v[116:117]
	v_add_f64 v[128:129], v[144:145], v[128:129]
	v_fma_f64 v[138:139], v[138:139], s[2:3], v[142:143]
	v_add_f64 v[120:121], v[118:119], v[151:152]
	v_mul_f64 v[118:119], v[140:141], s[10:11]
	v_mul_f64 v[140:141], v[140:141], s[8:9]
	v_add_f64 v[116:117], v[116:117], v[149:150]
	v_add_f64 v[132:133], v[138:139], v[132:133]
	v_fma_f64 v[122:123], v[136:137], s[16:17], v[118:119]
	v_fma_f64 v[118:119], v[136:137], s[16:17], -v[118:119]
	v_fma_f64 v[144:145], v[136:137], s[2:3], v[140:141]
	v_fma_f64 v[136:137], v[136:137], s[2:3], -v[140:141]
	v_add_f64 v[122:123], v[122:123], v[155:156]
	v_add_f64 v[118:119], v[118:119], v[153:154]
	;; [unrolled: 1-line block ×4, first 2 shown]
	s_and_saveexec_b32 s1, s0
	s_cbranch_execz .LBB0_11
; %bb.10:
	ds_write_b128 v255, v[92:95]
	ds_write_b128 v255, v[100:103] offset:2176
	ds_write_b128 v255, v[108:111] offset:4352
	;; [unrolled: 1-line block ×10, first 2 shown]
.LBB0_11:
	s_or_b32 exec_lo, exec_lo, s1
	s_waitcnt lgkmcnt(0)
	s_barrier
	buffer_gl0_inv
	s_and_saveexec_b32 s8, vcc_lo
	s_cbranch_execz .LBB0_13
; %bb.12:
	s_add_u32 s2, s12, 0x5d80
	s_addc_u32 s3, s13, 0
	ds_read_b128 v[136:139], v255
	global_load_dwordx4 v[140:143], v255, s[2:3]
	v_add_co_u32 v151, s1, s2, v255
	v_add_co_ci_u32_e64 v152, null, s3, 0, s1
	s_waitcnt vmcnt(0) lgkmcnt(0)
	v_mul_f64 v[144:145], v[138:139], v[142:143]
	v_fma_f64 v[144:145], v[136:137], v[140:141], -v[144:145]
	v_mul_f64 v[136:137], v[136:137], v[142:143]
	v_fma_f64 v[146:147], v[138:139], v[140:141], v[136:137]
	ds_read_b128 v[136:139], v255 offset:1408
	global_load_dwordx4 v[140:143], v255, s[2:3] offset:1408
	ds_write_b128 v255, v[144:147]
	s_waitcnt vmcnt(0) lgkmcnt(1)
	v_mul_f64 v[144:145], v[138:139], v[142:143]
	v_fma_f64 v[144:145], v[136:137], v[140:141], -v[144:145]
	v_mul_f64 v[136:137], v[136:137], v[142:143]
	v_fma_f64 v[146:147], v[138:139], v[140:141], v[136:137]
	v_add_co_u32 v140, s1, 0x800, v151
	v_add_co_ci_u32_e64 v141, s1, 0, v152, s1
	ds_read_b128 v[136:139], v255 offset:2816
	v_add_co_u32 v149, s1, 0x1000, v151
	global_load_dwordx4 v[140:143], v[140:141], off offset:768
	v_add_co_ci_u32_e64 v150, s1, 0, v152, s1
	ds_write_b128 v255, v[144:147] offset:1408
	s_waitcnt vmcnt(0) lgkmcnt(1)
	v_mul_f64 v[144:145], v[138:139], v[142:143]
	v_fma_f64 v[144:145], v[136:137], v[140:141], -v[144:145]
	v_mul_f64 v[136:137], v[136:137], v[142:143]
	v_fma_f64 v[146:147], v[138:139], v[140:141], v[136:137]
	global_load_dwordx4 v[140:143], v[149:150], off offset:128
	ds_read_b128 v[136:139], v255 offset:4224
	ds_write_b128 v255, v[144:147] offset:2816
	s_waitcnt vmcnt(0) lgkmcnt(1)
	v_mul_f64 v[144:145], v[138:139], v[142:143]
	v_fma_f64 v[144:145], v[136:137], v[140:141], -v[144:145]
	v_mul_f64 v[136:137], v[136:137], v[142:143]
	v_fma_f64 v[146:147], v[138:139], v[140:141], v[136:137]
	global_load_dwordx4 v[140:143], v[149:150], off offset:1536
	ds_read_b128 v[136:139], v255 offset:5632
	ds_write_b128 v255, v[144:147] offset:4224
	s_waitcnt vmcnt(0) lgkmcnt(1)
	v_mul_f64 v[144:145], v[138:139], v[142:143]
	v_fma_f64 v[144:145], v[136:137], v[140:141], -v[144:145]
	v_mul_f64 v[136:137], v[136:137], v[142:143]
	v_fma_f64 v[146:147], v[138:139], v[140:141], v[136:137]
	v_add_co_u32 v140, s1, 0x1800, v151
	v_add_co_ci_u32_e64 v141, s1, 0, v152, s1
	ds_read_b128 v[136:139], v255 offset:7040
	v_add_co_u32 v149, s1, 0x2000, v151
	global_load_dwordx4 v[140:143], v[140:141], off offset:896
	v_add_co_ci_u32_e64 v150, s1, 0, v152, s1
	ds_write_b128 v255, v[144:147] offset:5632
	s_waitcnt vmcnt(0) lgkmcnt(1)
	v_mul_f64 v[144:145], v[138:139], v[142:143]
	v_fma_f64 v[144:145], v[136:137], v[140:141], -v[144:145]
	v_mul_f64 v[136:137], v[136:137], v[142:143]
	v_fma_f64 v[146:147], v[138:139], v[140:141], v[136:137]
	global_load_dwordx4 v[140:143], v[149:150], off offset:256
	ds_read_b128 v[136:139], v255 offset:8448
	ds_write_b128 v255, v[144:147] offset:7040
	s_waitcnt vmcnt(0) lgkmcnt(1)
	v_mul_f64 v[144:145], v[138:139], v[142:143]
	v_fma_f64 v[144:145], v[136:137], v[140:141], -v[144:145]
	v_mul_f64 v[136:137], v[136:137], v[142:143]
	v_fma_f64 v[146:147], v[138:139], v[140:141], v[136:137]
	global_load_dwordx4 v[140:143], v[149:150], off offset:1664
	ds_read_b128 v[136:139], v255 offset:9856
	ds_write_b128 v255, v[144:147] offset:8448
	;; [unrolled: 28-line block ×4, first 2 shown]
	s_waitcnt vmcnt(0) lgkmcnt(1)
	v_mul_f64 v[144:145], v[138:139], v[142:143]
	v_fma_f64 v[144:145], v[136:137], v[140:141], -v[144:145]
	v_mul_f64 v[136:137], v[136:137], v[142:143]
	v_fma_f64 v[146:147], v[138:139], v[140:141], v[136:137]
	v_add_co_u32 v140, s1, 0x4800, v151
	v_add_co_ci_u32_e64 v141, s1, 0, v152, s1
	ds_read_b128 v[136:139], v255 offset:19712
	global_load_dwordx4 v[140:143], v[140:141], off offset:1280
	ds_write_b128 v255, v[144:147] offset:18304
	s_waitcnt vmcnt(0) lgkmcnt(1)
	v_mul_f64 v[144:145], v[138:139], v[142:143]
	v_fma_f64 v[144:145], v[136:137], v[140:141], -v[144:145]
	v_mul_f64 v[136:137], v[136:137], v[142:143]
	v_fma_f64 v[146:147], v[138:139], v[140:141], v[136:137]
	v_add_co_u32 v140, s1, 0x5000, v151
	v_add_co_ci_u32_e64 v141, s1, 0, v152, s1
	ds_read_b128 v[136:139], v255 offset:21120
	global_load_dwordx4 v[140:143], v[140:141], off offset:640
	ds_write_b128 v255, v[144:147] offset:19712
	s_waitcnt vmcnt(0) lgkmcnt(1)
	v_mul_f64 v[144:145], v[138:139], v[142:143]
	v_fma_f64 v[144:145], v[136:137], v[140:141], -v[144:145]
	v_mul_f64 v[136:137], v[136:137], v[142:143]
	v_fma_f64 v[146:147], v[138:139], v[140:141], v[136:137]
	v_or_b32_e32 v140, 0x5800, v255
	ds_read_b128 v[136:139], v255 offset:22528
	global_load_dwordx4 v[140:143], v140, s[2:3]
	ds_write_b128 v255, v[144:147] offset:21120
	s_waitcnt vmcnt(0) lgkmcnt(1)
	v_mul_f64 v[144:145], v[138:139], v[142:143]
	v_fma_f64 v[144:145], v[136:137], v[140:141], -v[144:145]
	v_mul_f64 v[136:137], v[136:137], v[142:143]
	v_fma_f64 v[146:147], v[138:139], v[140:141], v[136:137]
	ds_write_b128 v255, v[144:147] offset:22528
.LBB0_13:
	s_or_b32 exec_lo, exec_lo, s8
	s_waitcnt lgkmcnt(0)
	s_barrier
	buffer_gl0_inv
	s_and_saveexec_b32 s1, vcc_lo
	s_cbranch_execz .LBB0_15
; %bb.14:
	ds_read_b128 v[92:95], v255
	ds_read_b128 v[100:103], v255 offset:1408
	ds_read_b128 v[108:111], v255 offset:2816
	ds_read_b128 v[124:127], v255 offset:4224
	ds_read_b128 v[120:123], v255 offset:5632
	ds_read_b128 v[128:131], v255 offset:7040
	ds_read_b128 v[132:135], v255 offset:8448
	ds_read_b128 v[116:119], v255 offset:9856
	ds_read_b128 v[112:115], v255 offset:11264
	ds_read_b128 v[104:107], v255 offset:12672
	ds_read_b128 v[96:99], v255 offset:14080
	ds_read_b128 v[4:7], v255 offset:15488
	ds_read_b128 v[0:3], v255 offset:16896
	s_waitcnt lgkmcnt(0)
	buffer_store_dword v0, off, s[60:63], 0 offset:48 ; 4-byte Folded Spill
	buffer_store_dword v1, off, s[60:63], 0 offset:52 ; 4-byte Folded Spill
	buffer_store_dword v2, off, s[60:63], 0 offset:56 ; 4-byte Folded Spill
	buffer_store_dword v3, off, s[60:63], 0 offset:60 ; 4-byte Folded Spill
	ds_read_b128 v[0:3], v255 offset:18304
	s_waitcnt lgkmcnt(0)
	buffer_store_dword v0, off, s[60:63], 0 offset:32 ; 4-byte Folded Spill
	buffer_store_dword v1, off, s[60:63], 0 offset:36 ; 4-byte Folded Spill
	buffer_store_dword v2, off, s[60:63], 0 offset:40 ; 4-byte Folded Spill
	buffer_store_dword v3, off, s[60:63], 0 offset:44 ; 4-byte Folded Spill
	ds_read_b128 v[0:3], v255 offset:19712
	;; [unrolled: 6-line block ×3, first 2 shown]
	s_waitcnt lgkmcnt(0)
	buffer_store_dword v0, off, s[60:63], 0 ; 4-byte Folded Spill
	buffer_store_dword v1, off, s[60:63], 0 offset:4 ; 4-byte Folded Spill
	buffer_store_dword v2, off, s[60:63], 0 offset:8 ; 4-byte Folded Spill
	;; [unrolled: 1-line block ×3, first 2 shown]
	ds_read_b128 v[0:3], v255 offset:22528
.LBB0_15:
	s_or_b32 exec_lo, exec_lo, s1
	s_clause 0x7
	buffer_load_dword v20, off, s[60:63], 0
	buffer_load_dword v21, off, s[60:63], 0 offset:4
	buffer_load_dword v22, off, s[60:63], 0 offset:8
	;; [unrolled: 1-line block ×7, first 2 shown]
	s_waitcnt lgkmcnt(0)
	v_add_f64 v[185:186], v[102:103], -v[2:3]
	s_mov_b32 s10, 0x4363dd80
	s_mov_b32 s11, 0xbfe0d888
	v_add_f64 v[179:180], v[0:1], v[100:101]
	v_add_f64 v[181:182], v[2:3], v[102:103]
	s_mov_b32 s2, 0x910ea3b9
	s_mov_b32 s24, 0x7c9e640b
	;; [unrolled: 1-line block ×4, first 2 shown]
	v_add_f64 v[183:184], v[100:101], -v[0:1]
	s_mov_b32 s22, 0x2b2883cd
	s_mov_b32 s23, 0x3fdc86fa
	;; [unrolled: 1-line block ×12, first 2 shown]
	v_mul_f64 v[193:194], v[185:186], s[10:11]
	v_mul_f64 v[140:141], v[185:186], s[16:17]
	s_mov_b32 s37, 0xbfd71e95
	s_mov_b32 s36, s20
	v_mul_f64 v[197:198], v[181:182], s[2:3]
	v_mul_f64 v[144:145], v[181:182], s[8:9]
	s_mov_b32 s34, 0xeb564b22
	s_mov_b32 s35, 0xbfefdd0d
	;; [unrolled: 1-line block ×16, first 2 shown]
	v_fma_f64 v[136:137], v[179:180], s[2:3], -v[193:194]
	v_fma_f64 v[142:143], v[179:180], s[8:9], v[140:141]
	v_fma_f64 v[140:141], v[179:180], s[8:9], -v[140:141]
	s_mov_b32 s47, 0xbfe9895b
	v_fma_f64 v[138:139], v[183:184], s[10:11], v[197:198]
	v_fma_f64 v[146:147], v[183:184], s[26:27], v[144:145]
	;; [unrolled: 1-line block ×3, first 2 shown]
	s_mov_b32 s46, s48
	v_add_f64 v[207:208], v[134:135], -v[6:7]
	v_add_f64 v[219:220], v[118:119], -v[98:99]
	s_mov_b32 s51, 0xbfeca52d
	s_mov_b32 s50, s24
	;; [unrolled: 1-line block ×6, first 2 shown]
	v_add_f64 v[223:224], v[114:115], -v[106:107]
	s_mov_b32 s57, 0x3feec746
	s_mov_b32 s56, s54
	;; [unrolled: 1-line block ×4, first 2 shown]
	v_add_f64 v[136:137], v[92:93], v[136:137]
	v_add_f64 v[142:143], v[92:93], v[142:143]
	;; [unrolled: 1-line block ×6, first 2 shown]
	v_mul_f64 v[233:234], v[207:208], s[16:17]
	v_mul_f64 v[237:238], v[219:220], s[42:43]
	v_mul_f64 v[241:242], v[223:224], s[54:55]
	s_waitcnt vmcnt(4)
	v_add_f64 v[155:156], v[110:111], -v[22:23]
	v_add_f64 v[149:150], v[108:109], v[20:21]
	v_add_f64 v[151:152], v[110:111], v[22:23]
	v_add_f64 v[153:154], v[108:109], -v[20:21]
	s_waitcnt vmcnt(0)
	v_add_f64 v[163:164], v[126:127], -v[10:11]
	v_mul_f64 v[201:202], v[155:156], s[24:25]
	v_mul_f64 v[203:204], v[151:152], s[22:23]
	;; [unrolled: 1-line block ×3, first 2 shown]
	v_fma_f64 v[157:158], v[149:150], s[22:23], -v[201:202]
	v_add_f64 v[136:137], v[157:158], v[136:137]
	v_fma_f64 v[157:158], v[153:154], s[24:25], v[203:204]
	v_add_f64 v[138:139], v[157:158], v[138:139]
	v_mul_f64 v[157:158], v[155:156], s[20:21]
	v_fma_f64 v[159:160], v[149:150], s[18:19], v[157:158]
	v_fma_f64 v[157:158], v[149:150], s[18:19], -v[157:158]
	v_add_f64 v[142:143], v[159:160], v[142:143]
	v_mul_f64 v[159:160], v[151:152], s[18:19]
	v_add_f64 v[140:141], v[157:158], v[140:141]
	v_fma_f64 v[161:162], v[153:154], s[36:37], v[159:160]
	v_fma_f64 v[157:158], v[153:154], s[20:21], v[159:160]
	v_add_f64 v[159:160], v[10:11], v[126:127]
	v_add_f64 v[146:147], v[161:162], v[146:147]
	;; [unrolled: 1-line block ×4, first 2 shown]
	v_add_f64 v[161:162], v[124:125], -v[8:9]
	s_clause 0x3
	buffer_load_dword v8, off, s[60:63], 0 offset:32
	buffer_load_dword v9, off, s[60:63], 0 offset:36
	;; [unrolled: 1-line block ×4, first 2 shown]
	v_mul_f64 v[217:218], v[159:160], s[28:29]
	v_fma_f64 v[165:166], v[157:158], s[28:29], -v[215:216]
	v_add_f64 v[136:137], v[165:166], v[136:137]
	v_fma_f64 v[165:166], v[161:162], s[34:35], v[217:218]
	v_add_f64 v[138:139], v[165:166], v[138:139]
	v_mul_f64 v[165:166], v[163:164], s[10:11]
	v_fma_f64 v[167:168], v[157:158], s[2:3], v[165:166]
	v_fma_f64 v[165:166], v[157:158], s[2:3], -v[165:166]
	v_add_f64 v[142:143], v[167:168], v[142:143]
	v_mul_f64 v[167:168], v[159:160], s[2:3]
	v_add_f64 v[140:141], v[165:166], v[140:141]
	v_fma_f64 v[169:170], v[161:162], s[40:41], v[167:168]
	v_fma_f64 v[165:166], v[161:162], s[10:11], v[167:168]
	v_add_f64 v[146:147], v[169:170], v[146:147]
	v_add_f64 v[144:145], v[165:166], v[144:145]
	s_waitcnt vmcnt(2)
	v_add_f64 v[165:166], v[8:9], v[120:121]
	s_waitcnt vmcnt(0)
	v_add_f64 v[167:168], v[10:11], v[122:123]
	v_add_f64 v[169:170], v[120:121], -v[8:9]
	v_add_f64 v[171:172], v[122:123], -v[10:11]
	s_clause 0x3
	buffer_load_dword v8, off, s[60:63], 0 offset:48
	buffer_load_dword v9, off, s[60:63], 0 offset:52
	;; [unrolled: 1-line block ×4, first 2 shown]
	s_waitcnt vmcnt(0)
	s_waitcnt_vscnt null, 0x0
	s_barrier
	buffer_gl0_inv
	v_mul_f64 v[227:228], v[167:168], s[30:31]
	v_mul_f64 v[225:226], v[171:172], s[48:49]
	v_fma_f64 v[173:174], v[165:166], s[30:31], -v[225:226]
	v_add_f64 v[136:137], v[173:174], v[136:137]
	v_fma_f64 v[173:174], v[169:170], s[48:49], v[227:228]
	v_add_f64 v[138:139], v[173:174], v[138:139]
	v_mul_f64 v[173:174], v[171:172], s[42:43]
	v_fma_f64 v[175:176], v[165:166], s[38:39], v[173:174]
	v_fma_f64 v[173:174], v[165:166], s[38:39], -v[173:174]
	v_add_f64 v[142:143], v[175:176], v[142:143]
	v_mul_f64 v[175:176], v[167:168], s[38:39]
	v_add_f64 v[140:141], v[173:174], v[140:141]
	v_fma_f64 v[173:174], v[169:170], s[42:43], v[175:176]
	v_fma_f64 v[177:178], v[169:170], s[44:45], v[175:176]
	v_add_f64 v[144:145], v[173:174], v[144:145]
	v_add_f64 v[146:147], v[177:178], v[146:147]
	v_add_f64 v[189:190], v[130:131], -v[10:11]
	v_add_f64 v[173:174], v[128:129], v[8:9]
	v_add_f64 v[175:176], v[130:131], v[10:11]
	v_add_f64 v[177:178], v[128:129], -v[8:9]
	v_mul_f64 v[229:230], v[189:190], s[36:37]
	v_mul_f64 v[231:232], v[175:176], s[18:19]
	v_fma_f64 v[187:188], v[173:174], s[18:19], -v[229:230]
	v_add_f64 v[136:137], v[187:188], v[136:137]
	v_fma_f64 v[187:188], v[177:178], s[36:37], v[231:232]
	v_add_f64 v[138:139], v[187:188], v[138:139]
	v_mul_f64 v[187:188], v[189:190], s[46:47]
	v_fma_f64 v[191:192], v[173:174], s[30:31], v[187:188]
	v_fma_f64 v[187:188], v[173:174], s[30:31], -v[187:188]
	v_add_f64 v[142:143], v[191:192], v[142:143]
	v_mul_f64 v[191:192], v[175:176], s[30:31]
	v_add_f64 v[140:141], v[187:188], v[140:141]
	v_fma_f64 v[187:188], v[177:178], s[46:47], v[191:192]
	v_fma_f64 v[195:196], v[177:178], s[48:49], v[191:192]
	v_add_f64 v[191:192], v[6:7], v[134:135]
	v_add_f64 v[144:145], v[187:188], v[144:145]
	;; [unrolled: 1-line block ×4, first 2 shown]
	v_add_f64 v[195:196], v[132:133], -v[4:5]
	v_mul_f64 v[235:236], v[191:192], s[8:9]
	v_fma_f64 v[199:200], v[187:188], s[8:9], -v[233:234]
	v_add_f64 v[136:137], v[199:200], v[136:137]
	v_fma_f64 v[199:200], v[195:196], s[16:17], v[235:236]
	v_add_f64 v[138:139], v[199:200], v[138:139]
	v_mul_f64 v[199:200], v[207:208], s[24:25]
	v_fma_f64 v[205:206], v[187:188], s[22:23], v[199:200]
	v_fma_f64 v[199:200], v[187:188], s[22:23], -v[199:200]
	v_add_f64 v[142:143], v[205:206], v[142:143]
	v_mul_f64 v[205:206], v[191:192], s[22:23]
	v_add_f64 v[140:141], v[199:200], v[140:141]
	v_fma_f64 v[199:200], v[195:196], s[24:25], v[205:206]
	v_fma_f64 v[209:210], v[195:196], s[50:51], v[205:206]
	v_add_f64 v[205:206], v[118:119], v[98:99]
	v_add_f64 v[144:145], v[199:200], v[144:145]
	;; [unrolled: 1-line block ×4, first 2 shown]
	v_add_f64 v[209:210], v[116:117], -v[96:97]
	v_mul_f64 v[239:240], v[205:206], s[38:39]
	v_fma_f64 v[211:212], v[199:200], s[38:39], -v[237:238]
	v_add_f64 v[136:137], v[211:212], v[136:137]
	v_fma_f64 v[211:212], v[209:210], s[42:43], v[239:240]
	v_add_f64 v[138:139], v[211:212], v[138:139]
	v_mul_f64 v[211:212], v[219:220], s[54:55]
	v_fma_f64 v[213:214], v[199:200], s[52:53], v[211:212]
	v_fma_f64 v[211:212], v[199:200], s[52:53], -v[211:212]
	v_add_f64 v[142:143], v[213:214], v[142:143]
	v_mul_f64 v[213:214], v[205:206], s[52:53]
	v_add_f64 v[245:246], v[211:212], v[140:141]
	v_add_f64 v[211:212], v[112:113], v[104:105]
	v_fma_f64 v[221:222], v[209:210], s[56:57], v[213:214]
	v_fma_f64 v[140:141], v[209:210], s[54:55], v[213:214]
	v_add_f64 v[213:214], v[114:115], v[106:107]
	v_add_f64 v[146:147], v[221:222], v[146:147]
	;; [unrolled: 1-line block ×3, first 2 shown]
	v_add_f64 v[221:222], v[112:113], -v[104:105]
	v_mul_f64 v[243:244], v[213:214], s[52:53]
	v_fma_f64 v[140:141], v[211:212], s[52:53], -v[241:242]
	v_mul_f64 v[144:145], v[223:224], s[58:59]
	v_mul_f64 v[249:250], v[213:214], s[28:29]
	v_add_f64 v[136:137], v[140:141], v[136:137]
	v_fma_f64 v[140:141], v[221:222], s[54:55], v[243:244]
	v_add_f64 v[138:139], v[140:141], v[138:139]
	v_fma_f64 v[140:141], v[211:212], s[28:29], v[144:145]
	v_fma_f64 v[144:145], v[211:212], s[28:29], -v[144:145]
	v_add_f64 v[140:141], v[140:141], v[142:143]
	v_fma_f64 v[142:143], v[221:222], s[34:35], v[249:250]
	v_add_f64 v[144:145], v[144:145], v[245:246]
	v_add_f64 v[142:143], v[142:143], v[146:147]
	v_fma_f64 v[146:147], v[221:222], s[58:59], v[249:250]
	v_add_f64 v[146:147], v[146:147], v[247:248]
	s_and_saveexec_b32 s1, vcc_lo
	s_cbranch_execz .LBB0_17
; %bb.16:
	v_add_f64 v[102:103], v[94:95], v[102:103]
	v_add_f64 v[100:101], v[92:93], v[100:101]
	v_mul_f64 v[22:23], v[209:210], s[42:43]
	v_mul_f64 v[20:21], v[221:222], s[54:55]
	v_add_f64 v[102:103], v[110:111], v[102:103]
	v_add_f64 v[100:101], v[108:109], v[100:101]
	v_mul_f64 v[108:109], v[183:184], s[34:35]
	v_mul_f64 v[110:111], v[183:184], s[50:51]
	v_add_f64 v[22:23], v[239:240], -v[22:23]
	v_add_f64 v[20:21], v[243:244], -v[20:21]
	v_add_f64 v[102:103], v[126:127], v[102:103]
	v_add_f64 v[100:101], v[124:125], v[100:101]
	;; [unrolled: 1-line block ×4, first 2 shown]
	v_fma_f64 v[120:121], v[181:182], s[28:29], v[108:109]
	v_fma_f64 v[108:109], v[181:182], s[28:29], -v[108:109]
	v_fma_f64 v[122:123], v[181:182], s[22:23], v[110:111]
	v_fma_f64 v[110:111], v[181:182], s[22:23], -v[110:111]
	v_add_f64 v[102:103], v[130:131], v[102:103]
	v_add_f64 v[100:101], v[128:129], v[100:101]
	v_mul_f64 v[128:129], v[185:186], s[46:47]
	v_mul_f64 v[130:131], v[185:186], s[54:55]
	v_add_f64 v[120:121], v[94:95], v[120:121]
	v_add_f64 v[108:109], v[94:95], v[108:109]
	;; [unrolled: 1-line block ×6, first 2 shown]
	v_mul_f64 v[132:133], v[185:186], s[34:35]
	v_mul_f64 v[134:135], v[185:186], s[50:51]
	v_add_f64 v[102:103], v[118:119], v[102:103]
	v_add_f64 v[100:101], v[116:117], v[100:101]
	v_fma_f64 v[245:246], v[179:180], s[22:23], -v[134:135]
	v_fma_f64 v[134:135], v[179:180], s[22:23], v[134:135]
	v_add_f64 v[102:103], v[114:115], v[102:103]
	v_add_f64 v[100:101], v[112:113], v[100:101]
	v_mul_f64 v[112:113], v[183:184], s[44:45]
	v_mul_f64 v[114:115], v[183:184], s[36:37]
	v_add_f64 v[134:135], v[92:93], v[134:135]
	v_add_f64 v[102:103], v[106:107], v[102:103]
	;; [unrolled: 1-line block ×3, first 2 shown]
	v_mul_f64 v[104:105], v[183:184], s[46:47]
	v_mul_f64 v[106:107], v[183:184], s[54:55]
	v_fma_f64 v[124:125], v[181:182], s[38:39], v[112:113]
	v_fma_f64 v[112:113], v[181:182], s[38:39], -v[112:113]
	v_fma_f64 v[126:127], v[181:182], s[18:19], v[114:115]
	v_fma_f64 v[114:115], v[181:182], s[18:19], -v[114:115]
	v_add_f64 v[98:99], v[98:99], v[102:103]
	v_add_f64 v[96:97], v[96:97], v[100:101]
	v_mul_f64 v[100:101], v[183:184], s[10:11]
	v_mul_f64 v[102:103], v[179:180], s[2:3]
	v_fma_f64 v[116:117], v[181:182], s[30:31], v[104:105]
	v_fma_f64 v[104:105], v[181:182], s[30:31], -v[104:105]
	v_fma_f64 v[118:119], v[181:182], s[52:53], v[106:107]
	v_fma_f64 v[106:107], v[181:182], s[52:53], -v[106:107]
	v_mul_f64 v[181:182], v[185:186], s[44:45]
	v_mul_f64 v[183:184], v[185:186], s[36:37]
	v_fma_f64 v[185:186], v[179:180], s[30:31], -v[128:129]
	v_fma_f64 v[128:129], v[179:180], s[30:31], v[128:129]
	v_add_f64 v[124:125], v[94:95], v[124:125]
	v_add_f64 v[112:113], v[94:95], v[112:113]
	v_add_f64 v[126:127], v[94:95], v[126:127]
	v_add_f64 v[98:99], v[6:7], v[98:99]
	v_add_f64 v[96:97], v[4:5], v[96:97]
	v_add_f64 v[100:101], v[197:198], -v[100:101]
	v_add_f64 v[102:103], v[102:103], v[193:194]
	v_fma_f64 v[193:194], v[179:180], s[52:53], -v[130:131]
	v_fma_f64 v[130:131], v[179:180], s[52:53], v[130:131]
	v_fma_f64 v[197:198], v[179:180], s[28:29], -v[132:133]
	v_fma_f64 v[132:133], v[179:180], s[28:29], v[132:133]
	;; [unrolled: 2-line block ×4, first 2 shown]
	v_add_f64 v[183:184], v[92:93], v[185:186]
	v_add_f64 v[128:129], v[92:93], v[128:129]
	s_clause 0x3
	buffer_load_dword v4, off, s[60:63], 0 offset:48
	buffer_load_dword v5, off, s[60:63], 0 offset:52
	;; [unrolled: 1-line block ×4, first 2 shown]
	v_add_f64 v[116:117], v[94:95], v[116:117]
	v_add_f64 v[104:105], v[94:95], v[104:105]
	v_add_f64 v[118:119], v[94:95], v[118:119]
	v_add_f64 v[106:107], v[94:95], v[106:107]
	v_add_f64 v[100:101], v[94:95], v[100:101]
	v_add_f64 v[102:103], v[92:93], v[102:103]
	v_add_f64 v[185:186], v[92:93], v[193:194]
	v_add_f64 v[130:131], v[92:93], v[130:131]
	v_add_f64 v[193:194], v[92:93], v[197:198]
	v_add_f64 v[132:133], v[92:93], v[132:133]
	v_add_f64 v[197:198], v[92:93], v[245:246]
	v_add_f64 v[245:246], v[92:93], v[247:248]
	v_add_f64 v[181:182], v[92:93], v[181:182]
	v_add_f64 v[247:248], v[92:93], v[249:250]
	v_add_f64 v[92:93], v[92:93], v[179:180]
	v_mul_f64 v[179:180], v[177:178], s[36:37]
	v_add_f64 v[94:95], v[94:95], v[114:115]
	v_mul_f64 v[114:115], v[195:196], s[16:17]
	v_add_f64 v[179:180], v[231:232], -v[179:180]
	v_mul_f64 v[231:232], v[169:170], s[48:49]
	v_add_f64 v[114:115], v[235:236], -v[114:115]
	v_add_f64 v[227:228], v[227:228], -v[231:232]
	v_mul_f64 v[231:232], v[161:162], s[34:35]
	v_add_f64 v[217:218], v[217:218], -v[231:232]
	v_mul_f64 v[231:232], v[153:154], s[24:25]
	;; [unrolled: 2-line block ×3, first 2 shown]
	v_add_f64 v[100:101], v[203:204], v[100:101]
	v_add_f64 v[201:202], v[231:232], v[201:202]
	v_mul_f64 v[231:232], v[157:158], s[28:29]
	v_mul_f64 v[203:204], v[173:174], s[18:19]
	v_add_f64 v[100:101], v[217:218], v[100:101]
	v_add_f64 v[102:103], v[201:202], v[102:103]
	;; [unrolled: 1-line block ×3, first 2 shown]
	v_mul_f64 v[201:202], v[165:166], s[30:31]
	v_add_f64 v[203:204], v[203:204], v[229:230]
	v_mul_f64 v[231:232], v[221:222], s[24:25]
	v_add_f64 v[100:101], v[227:228], v[100:101]
	v_add_f64 v[102:103], v[215:216], v[102:103]
	;; [unrolled: 1-line block ×4, first 2 shown]
	v_mul_f64 v[179:180], v[199:200], s[38:39]
	v_add_f64 v[102:103], v[201:202], v[102:103]
	v_mul_f64 v[201:202], v[187:188], s[8:9]
	v_add_f64 v[100:101], v[114:115], v[100:101]
	v_add_f64 v[179:180], v[179:180], v[237:238]
	v_mul_f64 v[114:115], v[211:212], s[52:53]
	v_add_f64 v[102:103], v[203:204], v[102:103]
	;; [unrolled: 3-line block ×3, first 2 shown]
	v_add_f64 v[114:115], v[114:115], v[241:242]
	v_add_f64 v[102:103], v[201:202], v[102:103]
	;; [unrolled: 1-line block ×4, first 2 shown]
	v_mul_f64 v[102:103], v[155:156], s[56:57]
	v_add_f64 v[20:21], v[114:115], v[100:101]
	v_mul_f64 v[100:101], v[153:154], s[56:57]
	v_mul_f64 v[114:115], v[161:162], s[36:37]
	v_fma_f64 v[18:19], v[149:150], s[52:53], -v[102:103]
	v_fma_f64 v[14:15], v[149:150], s[52:53], v[102:103]
	v_fma_f64 v[102:103], v[211:212], s[22:23], v[233:234]
	;; [unrolled: 1-line block ×3, first 2 shown]
	v_fma_f64 v[12:13], v[151:152], s[52:53], -v[100:101]
	v_add_f64 v[18:19], v[18:19], v[183:184]
	v_fma_f64 v[100:101], v[159:160], s[18:19], -v[114:115]
	v_add_f64 v[14:15], v[14:15], v[128:129]
	s_waitcnt vmcnt(0)
	v_add_f64 v[98:99], v[6:7], v[98:99]
	v_add_f64 v[96:97], v[4:5], v[96:97]
	s_clause 0x7
	buffer_load_dword v4, off, s[60:63], 0 offset:32
	buffer_load_dword v5, off, s[60:63], 0 offset:36
	;; [unrolled: 1-line block ×8, first 2 shown]
	v_add_f64 v[16:17], v[16:17], v[116:117]
	v_fma_f64 v[116:117], v[159:160], s[18:19], v[114:115]
	v_add_f64 v[12:13], v[12:13], v[104:105]
	v_mul_f64 v[104:105], v[153:154], s[16:17]
	v_mul_f64 v[114:115], v[155:156], s[16:17]
	v_add_f64 v[16:17], v[116:117], v[16:17]
	v_mul_f64 v[116:117], v[163:164], s[36:37]
	v_add_f64 v[12:13], v[100:101], v[12:13]
	v_fma_f64 v[179:180], v[157:158], s[18:19], -v[116:117]
	v_fma_f64 v[100:101], v[157:158], s[18:19], v[116:117]
	v_fma_f64 v[116:117], v[149:150], s[8:9], -v[114:115]
	v_add_f64 v[18:19], v[179:180], v[18:19]
	v_mul_f64 v[179:180], v[169:170], s[10:11]
	v_add_f64 v[14:15], v[100:101], v[14:15]
	v_add_f64 v[116:117], v[116:117], v[193:194]
	v_fma_f64 v[183:184], v[167:168], s[2:3], v[179:180]
	v_fma_f64 v[100:101], v[167:168], s[2:3], -v[179:180]
	v_add_f64 v[16:17], v[183:184], v[16:17]
	v_mul_f64 v[183:184], v[171:172], s[10:11]
	v_add_f64 v[12:13], v[100:101], v[12:13]
	v_fma_f64 v[201:202], v[165:166], s[2:3], -v[183:184]
	v_fma_f64 v[100:101], v[165:166], s[2:3], v[183:184]
	v_add_f64 v[18:19], v[201:202], v[18:19]
	v_mul_f64 v[201:202], v[177:178], s[58:59]
	v_add_f64 v[14:15], v[100:101], v[14:15]
	v_fma_f64 v[203:204], v[175:176], s[28:29], v[201:202]
	v_fma_f64 v[100:101], v[175:176], s[28:29], -v[201:202]
	v_add_f64 v[16:17], v[203:204], v[16:17]
	v_mul_f64 v[203:204], v[189:190], s[58:59]
	v_add_f64 v[12:13], v[100:101], v[12:13]
	v_fma_f64 v[215:216], v[173:174], s[28:29], -v[203:204]
	v_fma_f64 v[100:101], v[173:174], s[28:29], v[203:204]
	v_add_f64 v[18:19], v[215:216], v[18:19]
	v_mul_f64 v[215:216], v[195:196], s[44:45]
	v_add_f64 v[14:15], v[100:101], v[14:15]
	v_fma_f64 v[217:218], v[191:192], s[38:39], v[215:216]
	v_fma_f64 v[100:101], v[191:192], s[38:39], -v[215:216]
	v_add_f64 v[16:17], v[217:218], v[16:17]
	v_mul_f64 v[217:218], v[207:208], s[44:45]
	v_add_f64 v[12:13], v[100:101], v[12:13]
	s_waitcnt vmcnt(6)
	v_add_f64 v[96:97], v[4:5], v[96:97]
	s_waitcnt vmcnt(4)
	v_add_f64 v[98:99], v[6:7], v[98:99]
	s_clause 0x3
	buffer_load_dword v4, off, s[60:63], 0
	buffer_load_dword v5, off, s[60:63], 0 offset:4
	buffer_load_dword v6, off, s[60:63], 0 offset:8
	;; [unrolled: 1-line block ×3, first 2 shown]
	v_fma_f64 v[225:226], v[187:188], s[38:39], -v[217:218]
	v_fma_f64 v[100:101], v[187:188], s[38:39], v[217:218]
	s_waitcnt vmcnt(6)
	v_add_f64 v[8:9], v[8:9], v[96:97]
	v_mul_f64 v[96:97], v[153:154], s[40:41]
	s_waitcnt vmcnt(4)
	v_add_f64 v[10:11], v[10:11], v[98:99]
	v_add_f64 v[18:19], v[225:226], v[18:19]
	v_mul_f64 v[225:226], v[209:210], s[16:17]
	v_add_f64 v[14:15], v[100:101], v[14:15]
	v_fma_f64 v[98:99], v[151:152], s[2:3], v[96:97]
	v_fma_f64 v[96:97], v[151:152], s[2:3], -v[96:97]
	v_fma_f64 v[227:228], v[205:206], s[8:9], v[225:226]
	v_fma_f64 v[100:101], v[205:206], s[8:9], -v[225:226]
	v_add_f64 v[98:99], v[98:99], v[118:119]
	v_add_f64 v[96:97], v[96:97], v[106:107]
	v_fma_f64 v[106:107], v[151:152], s[8:9], v[104:105]
	v_mul_f64 v[118:119], v[161:162], s[42:43]
	v_add_f64 v[16:17], v[227:228], v[16:17]
	v_mul_f64 v[227:228], v[219:220], s[16:17]
	v_add_f64 v[12:13], v[100:101], v[12:13]
	v_add_f64 v[106:107], v[106:107], v[120:121]
	v_fma_f64 v[120:121], v[159:160], s[38:39], v[118:119]
	v_fma_f64 v[118:119], v[159:160], s[38:39], -v[118:119]
	v_fma_f64 v[100:101], v[199:200], s[8:9], v[227:228]
	v_fma_f64 v[229:230], v[199:200], s[8:9], -v[227:228]
	v_add_f64 v[98:99], v[120:121], v[98:99]
	v_mul_f64 v[120:121], v[163:164], s[42:43]
	v_add_f64 v[96:97], v[118:119], v[96:97]
	v_add_f64 v[100:101], v[100:101], v[14:15]
	v_fma_f64 v[14:15], v[213:214], s[22:23], -v[231:232]
	v_add_f64 v[229:230], v[229:230], v[18:19]
	v_fma_f64 v[18:19], v[213:214], s[22:23], v[231:232]
	v_fma_f64 v[118:119], v[157:158], s[38:39], v[120:121]
	v_fma_f64 v[128:129], v[157:158], s[38:39], -v[120:121]
	v_add_f64 v[14:15], v[14:15], v[12:13]
	v_add_f64 v[12:13], v[102:103], v[100:101]
	v_mul_f64 v[100:101], v[155:156], s[40:41]
	v_add_f64 v[18:19], v[18:19], v[16:17]
	v_fma_f64 v[16:17], v[211:212], s[22:23], -v[233:234]
	v_fma_f64 v[102:103], v[149:150], s[2:3], -v[100:101]
	v_fma_f64 v[100:101], v[149:150], s[2:3], v[100:101]
	v_add_f64 v[16:17], v[16:17], v[229:230]
	v_add_f64 v[102:103], v[102:103], v[185:186]
	;; [unrolled: 1-line block ×5, first 2 shown]
	v_mul_f64 v[118:119], v[161:162], s[56:57]
	v_fma_f64 v[120:121], v[159:160], s[52:53], v[118:119]
	v_add_f64 v[106:107], v[120:121], v[106:107]
	v_mul_f64 v[120:121], v[169:170], s[50:51]
	v_fma_f64 v[128:129], v[167:168], s[22:23], v[120:121]
	v_fma_f64 v[120:121], v[167:168], s[22:23], -v[120:121]
	v_add_f64 v[98:99], v[128:129], v[98:99]
	v_mul_f64 v[128:129], v[171:172], s[50:51]
	v_add_f64 v[96:97], v[120:121], v[96:97]
	s_waitcnt vmcnt(0)
	v_add_f64 v[6:7], v[6:7], v[10:11]
	v_add_f64 v[10:11], v[4:5], v[8:9]
	v_fma_f64 v[120:121], v[165:166], s[22:23], v[128:129]
	v_fma_f64 v[130:131], v[165:166], s[22:23], -v[128:129]
	v_add_f64 v[100:101], v[120:121], v[100:101]
	v_mul_f64 v[120:121], v[169:170], s[20:21]
	v_add_f64 v[102:103], v[130:131], v[102:103]
	v_fma_f64 v[128:129], v[167:168], s[18:19], v[120:121]
	v_add_f64 v[106:107], v[128:129], v[106:107]
	v_mul_f64 v[128:129], v[177:178], s[16:17]
	v_fma_f64 v[130:131], v[175:176], s[8:9], v[128:129]
	v_fma_f64 v[128:129], v[175:176], s[8:9], -v[128:129]
	v_add_f64 v[98:99], v[130:131], v[98:99]
	v_mul_f64 v[130:131], v[189:190], s[16:17]
	v_add_f64 v[96:97], v[128:129], v[96:97]
	v_fma_f64 v[128:129], v[173:174], s[8:9], v[130:131]
	v_fma_f64 v[179:180], v[173:174], s[8:9], -v[130:131]
	v_add_f64 v[100:101], v[128:129], v[100:101]
	v_mul_f64 v[128:129], v[177:178], s[50:51]
	v_add_f64 v[102:103], v[179:180], v[102:103]
	v_fma_f64 v[130:131], v[175:176], s[22:23], v[128:129]
	v_add_f64 v[106:107], v[130:131], v[106:107]
	v_mul_f64 v[130:131], v[195:196], s[58:59]
	v_fma_f64 v[179:180], v[191:192], s[28:29], v[130:131]
	v_fma_f64 v[130:131], v[191:192], s[28:29], -v[130:131]
	v_add_f64 v[98:99], v[179:180], v[98:99]
	v_mul_f64 v[179:180], v[207:208], s[58:59]
	v_add_f64 v[96:97], v[130:131], v[96:97]
	v_fma_f64 v[130:131], v[187:188], s[28:29], v[179:180]
	v_fma_f64 v[183:184], v[187:188], s[28:29], -v[179:180]
	v_add_f64 v[100:101], v[130:131], v[100:101]
	v_mul_f64 v[130:131], v[195:196], s[10:11]
	v_add_f64 v[102:103], v[183:184], v[102:103]
	v_fma_f64 v[179:180], v[191:192], s[2:3], v[130:131]
	v_add_f64 v[106:107], v[179:180], v[106:107]
	v_mul_f64 v[179:180], v[209:210], s[36:37]
	v_fma_f64 v[183:184], v[205:206], s[18:19], v[179:180]
	v_add_f64 v[183:184], v[183:184], v[98:99]
	v_mul_f64 v[98:99], v[219:220], s[36:37]
	v_fma_f64 v[185:186], v[199:200], s[18:19], -v[98:99]
	v_fma_f64 v[98:99], v[199:200], s[18:19], v[98:99]
	v_add_f64 v[185:186], v[185:186], v[102:103]
	v_fma_f64 v[102:103], v[205:206], s[18:19], -v[179:180]
	v_add_f64 v[179:180], v[98:99], v[100:101]
	v_mul_f64 v[98:99], v[209:210], s[48:49]
	v_add_f64 v[96:97], v[102:103], v[96:97]
	v_fma_f64 v[100:101], v[205:206], s[30:31], v[98:99]
	v_fma_f64 v[98:99], v[205:206], s[30:31], -v[98:99]
	v_add_f64 v[193:194], v[100:101], v[106:107]
	v_mul_f64 v[100:101], v[163:164], s[56:57]
	v_mul_f64 v[106:107], v[171:172], s[20:21]
	v_fma_f64 v[102:103], v[157:158], s[52:53], -v[100:101]
	v_fma_f64 v[100:101], v[157:158], s[52:53], v[100:101]
	v_add_f64 v[102:103], v[102:103], v[116:117]
	v_fma_f64 v[116:117], v[165:166], s[18:19], -v[106:107]
	v_add_f64 v[102:103], v[116:117], v[102:103]
	v_mul_f64 v[116:117], v[189:190], s[50:51]
	v_fma_f64 v[201:202], v[173:174], s[22:23], -v[116:117]
	v_add_f64 v[102:103], v[201:202], v[102:103]
	v_mul_f64 v[201:202], v[207:208], s[10:11]
	v_fma_f64 v[203:204], v[187:188], s[2:3], -v[201:202]
	v_add_f64 v[102:103], v[203:204], v[102:103]
	v_mul_f64 v[203:204], v[219:220], s[48:49]
	v_fma_f64 v[215:216], v[199:200], s[30:31], -v[203:204]
	v_add_f64 v[215:216], v[215:216], v[102:103]
	v_fma_f64 v[102:103], v[151:152], s[8:9], -v[104:105]
	v_fma_f64 v[104:105], v[159:160], s[52:53], -v[118:119]
	v_add_f64 v[102:103], v[102:103], v[108:109]
	v_add_f64 v[102:103], v[104:105], v[102:103]
	v_fma_f64 v[104:105], v[167:168], s[18:19], -v[120:121]
	v_add_f64 v[102:103], v[104:105], v[102:103]
	v_fma_f64 v[104:105], v[175:176], s[22:23], -v[128:129]
	v_mul_f64 v[128:129], v[163:164], s[26:27]
	v_add_f64 v[102:103], v[104:105], v[102:103]
	v_fma_f64 v[104:105], v[191:192], s[2:3], -v[130:131]
	v_fma_f64 v[130:131], v[157:158], s[8:9], -v[128:129]
	v_add_f64 v[102:103], v[104:105], v[102:103]
	v_mul_f64 v[104:105], v[161:162], s[26:27]
	v_add_f64 v[98:99], v[98:99], v[102:103]
	v_fma_f64 v[102:103], v[149:150], s[8:9], v[114:115]
	v_add_f64 v[102:103], v[102:103], v[132:133]
	v_add_f64 v[100:101], v[100:101], v[102:103]
	v_fma_f64 v[102:103], v[165:166], s[18:19], v[106:107]
	v_fma_f64 v[106:107], v[159:160], s[8:9], v[104:105]
	v_fma_f64 v[104:105], v[159:160], s[8:9], -v[104:105]
	v_add_f64 v[100:101], v[102:103], v[100:101]
	v_fma_f64 v[102:103], v[173:174], s[22:23], v[116:117]
	v_add_f64 v[100:101], v[102:103], v[100:101]
	v_fma_f64 v[102:103], v[187:188], s[2:3], v[201:202]
	;; [unrolled: 2-line block ×3, first 2 shown]
	v_add_f64 v[108:109], v[102:103], v[100:101]
	v_mul_f64 v[100:101], v[153:154], s[46:47]
	v_fma_f64 v[102:103], v[151:152], s[30:31], v[100:101]
	v_fma_f64 v[100:101], v[151:152], s[30:31], -v[100:101]
	v_add_f64 v[102:103], v[102:103], v[122:123]
	v_add_f64 v[100:101], v[100:101], v[110:111]
	v_mul_f64 v[110:111], v[161:162], s[46:47]
	v_add_f64 v[102:103], v[106:107], v[102:103]
	v_mul_f64 v[106:107], v[169:170], s[56:57]
	v_add_f64 v[100:101], v[104:105], v[100:101]
	v_fma_f64 v[114:115], v[167:168], s[52:53], v[106:107]
	v_fma_f64 v[104:105], v[167:168], s[52:53], -v[106:107]
	v_add_f64 v[102:103], v[114:115], v[102:103]
	v_mul_f64 v[114:115], v[177:178], s[42:43]
	v_add_f64 v[100:101], v[104:105], v[100:101]
	v_fma_f64 v[116:117], v[175:176], s[38:39], v[114:115]
	v_fma_f64 v[104:105], v[175:176], s[38:39], -v[114:115]
	v_fma_f64 v[114:115], v[159:160], s[30:31], v[110:111]
	v_fma_f64 v[110:111], v[159:160], s[30:31], -v[110:111]
	v_add_f64 v[102:103], v[116:117], v[102:103]
	v_mul_f64 v[116:117], v[195:196], s[36:37]
	v_add_f64 v[100:101], v[104:105], v[100:101]
	v_fma_f64 v[118:119], v[191:192], s[18:19], v[116:117]
	v_fma_f64 v[104:105], v[191:192], s[18:19], -v[116:117]
	v_add_f64 v[102:103], v[118:119], v[102:103]
	v_mul_f64 v[118:119], v[209:210], s[34:35]
	v_add_f64 v[100:101], v[104:105], v[100:101]
	;; [unrolled: 5-line block ×3, first 2 shown]
	v_fma_f64 v[104:105], v[157:158], s[8:9], v[128:129]
	v_fma_f64 v[122:123], v[149:150], s[30:31], -v[102:103]
	v_fma_f64 v[102:103], v[149:150], s[30:31], v[102:103]
	v_add_f64 v[122:123], v[122:123], v[197:198]
	v_add_f64 v[102:103], v[102:103], v[134:135]
	v_add_f64 v[122:123], v[130:131], v[122:123]
	v_mul_f64 v[130:131], v[171:172], s[56:57]
	v_add_f64 v[102:103], v[104:105], v[102:103]
	v_fma_f64 v[132:133], v[165:166], s[52:53], -v[130:131]
	v_fma_f64 v[104:105], v[165:166], s[52:53], v[130:131]
	v_mul_f64 v[130:131], v[163:164], s[46:47]
	v_add_f64 v[122:123], v[132:133], v[122:123]
	v_mul_f64 v[132:133], v[189:190], s[42:43]
	v_add_f64 v[102:103], v[104:105], v[102:103]
	v_fma_f64 v[197:198], v[173:174], s[38:39], -v[132:133]
	v_fma_f64 v[104:105], v[173:174], s[38:39], v[132:133]
	v_fma_f64 v[132:133], v[157:158], s[30:31], -v[130:131]
	v_add_f64 v[122:123], v[197:198], v[122:123]
	v_mul_f64 v[197:198], v[207:208], s[36:37]
	v_add_f64 v[102:103], v[104:105], v[102:103]
	v_fma_f64 v[104:105], v[187:188], s[18:19], v[197:198]
	v_fma_f64 v[201:202], v[187:188], s[18:19], -v[197:198]
	v_add_f64 v[102:103], v[104:105], v[102:103]
	v_mul_f64 v[104:105], v[153:154], s[34:35]
	v_add_f64 v[122:123], v[201:202], v[122:123]
	v_mul_f64 v[201:202], v[219:220], s[34:35]
	v_fma_f64 v[106:107], v[151:152], s[28:29], v[104:105]
	v_fma_f64 v[104:105], v[151:152], s[28:29], -v[104:105]
	v_fma_f64 v[203:204], v[199:200], s[28:29], -v[201:202]
	v_add_f64 v[106:107], v[106:107], v[124:125]
	v_add_f64 v[104:105], v[104:105], v[112:113]
	v_fma_f64 v[112:113], v[157:158], s[30:31], v[130:131]
	v_add_f64 v[122:123], v[203:204], v[122:123]
	v_add_f64 v[106:107], v[114:115], v[106:107]
	v_mul_f64 v[114:115], v[169:170], s[16:17]
	v_add_f64 v[104:105], v[110:111], v[104:105]
	v_fma_f64 v[116:117], v[167:168], s[8:9], v[114:115]
	v_fma_f64 v[110:111], v[167:168], s[8:9], -v[114:115]
	v_add_f64 v[106:107], v[116:117], v[106:107]
	v_mul_f64 v[116:117], v[177:178], s[40:41]
	v_add_f64 v[104:105], v[110:111], v[104:105]
	v_fma_f64 v[118:119], v[175:176], s[2:3], v[116:117]
	v_fma_f64 v[110:111], v[175:176], s[2:3], -v[116:117]
	v_mul_f64 v[116:117], v[161:162], s[50:51]
	v_mul_f64 v[161:162], v[209:210], s[10:11]
	v_add_f64 v[106:107], v[118:119], v[106:107]
	v_mul_f64 v[118:119], v[195:196], s[56:57]
	v_add_f64 v[104:105], v[110:111], v[104:105]
	v_fma_f64 v[124:125], v[191:192], s[52:53], v[118:119]
	v_fma_f64 v[118:119], v[191:192], s[52:53], -v[118:119]
	v_add_f64 v[106:107], v[124:125], v[106:107]
	v_mul_f64 v[124:125], v[155:156], s[34:35]
	v_add_f64 v[104:105], v[118:119], v[104:105]
	v_mul_f64 v[118:119], v[223:224], s[42:43]
	v_fma_f64 v[128:129], v[149:150], s[28:29], -v[124:125]
	v_fma_f64 v[110:111], v[149:150], s[28:29], v[124:125]
	v_fma_f64 v[124:125], v[159:160], s[22:23], v[116:117]
	v_fma_f64 v[116:117], v[159:160], s[22:23], -v[116:117]
	v_add_f64 v[128:129], v[128:129], v[245:246]
	v_add_f64 v[110:111], v[110:111], v[181:182]
	;; [unrolled: 1-line block ×3, first 2 shown]
	v_mul_f64 v[132:133], v[171:172], s[16:17]
	v_add_f64 v[110:111], v[112:113], v[110:111]
	v_fma_f64 v[134:135], v[165:166], s[8:9], -v[132:133]
	v_fma_f64 v[112:113], v[165:166], s[8:9], v[132:133]
	v_mul_f64 v[132:133], v[177:178], s[54:55]
	v_add_f64 v[128:129], v[134:135], v[128:129]
	v_mul_f64 v[134:135], v[189:190], s[40:41]
	v_add_f64 v[110:111], v[112:113], v[110:111]
	v_fma_f64 v[112:113], v[173:174], s[2:3], v[134:135]
	v_fma_f64 v[197:198], v[173:174], s[2:3], -v[134:135]
	v_mul_f64 v[134:135], v[189:190], s[54:55]
	v_add_f64 v[110:111], v[112:113], v[110:111]
	v_mul_f64 v[112:113], v[153:154], s[44:45]
	v_add_f64 v[128:129], v[197:198], v[128:129]
	v_mul_f64 v[153:154], v[195:196], s[46:47]
	v_fma_f64 v[114:115], v[151:152], s[38:39], v[112:113]
	v_fma_f64 v[112:113], v[151:152], s[38:39], -v[112:113]
	v_fma_f64 v[151:152], v[199:200], s[28:29], v[201:202]
	v_add_f64 v[114:115], v[114:115], v[126:127]
	v_add_f64 v[94:95], v[112:113], v[94:95]
	v_mul_f64 v[112:113], v[155:156], s[44:45]
	v_add_f64 v[151:152], v[151:152], v[102:103]
	v_mul_f64 v[155:156], v[207:208], s[46:47]
	;; [unrolled: 2-line block ×4, first 2 shown]
	v_mul_f64 v[163:164], v[219:220], s[10:11]
	v_mul_f64 v[169:170], v[223:224], s[10:11]
	v_fma_f64 v[126:127], v[167:168], s[28:29], v[124:125]
	v_fma_f64 v[124:125], v[167:168], s[28:29], -v[124:125]
	v_fma_f64 v[130:131], v[157:158], s[22:23], -v[116:117]
	v_fma_f64 v[116:117], v[157:158], s[22:23], v[116:117]
	v_mul_f64 v[167:168], v[223:224], s[20:21]
	v_add_f64 v[114:115], v[126:127], v[114:115]
	v_fma_f64 v[126:127], v[149:150], s[38:39], -v[112:113]
	v_fma_f64 v[112:113], v[149:150], s[38:39], v[112:113]
	v_mul_f64 v[149:150], v[207:208], s[56:57]
	v_add_f64 v[94:95], v[124:125], v[94:95]
	v_fma_f64 v[124:125], v[175:176], s[52:53], -v[132:133]
	v_fma_f64 v[132:133], v[175:176], s[52:53], v[132:133]
	v_add_f64 v[126:127], v[126:127], v[247:248]
	v_add_f64 v[92:93], v[112:113], v[92:93]
	v_mul_f64 v[112:113], v[171:172], s[34:35]
	v_fma_f64 v[159:160], v[187:188], s[52:53], -v[149:150]
	v_fma_f64 v[149:150], v[187:188], s[52:53], v[149:150]
	v_add_f64 v[114:115], v[132:133], v[114:115]
	v_mul_f64 v[132:133], v[221:222], s[42:43]
	v_add_f64 v[94:95], v[124:125], v[94:95]
	v_fma_f64 v[124:125], v[191:192], s[30:31], -v[153:154]
	v_mul_f64 v[171:172], v[223:224], s[46:47]
	v_add_f64 v[126:127], v[130:131], v[126:127]
	v_add_f64 v[92:93], v[116:117], v[92:93]
	v_fma_f64 v[116:117], v[165:166], s[28:29], v[112:113]
	v_mul_f64 v[130:131], v[209:210], s[24:25]
	v_fma_f64 v[112:113], v[165:166], s[28:29], -v[112:113]
	v_add_f64 v[102:103], v[159:160], v[128:129]
	v_mul_f64 v[128:129], v[221:222], s[46:47]
	v_add_f64 v[110:111], v[149:150], v[110:111]
	v_mul_f64 v[159:160], v[221:222], s[20:21]
	;; [unrolled: 2-line block ×3, first 2 shown]
	v_mul_f64 v[165:166], v[223:224], s[16:17]
	v_fma_f64 v[175:176], v[211:212], s[30:31], v[171:172]
	v_fma_f64 v[171:172], v[211:212], s[30:31], -v[171:172]
	v_add_f64 v[92:93], v[116:117], v[92:93]
	v_fma_f64 v[157:158], v[205:206], s[22:23], v[130:131]
	v_add_f64 v[112:113], v[112:113], v[126:127]
	v_mul_f64 v[126:127], v[219:220], s[24:25]
	v_fma_f64 v[116:117], v[173:174], s[52:53], v[134:135]
	v_fma_f64 v[134:135], v[173:174], s[52:53], -v[134:135]
	v_fma_f64 v[130:131], v[205:206], s[22:23], -v[130:131]
	;; [unrolled: 1-line block ×3, first 2 shown]
	v_fma_f64 v[173:174], v[211:212], s[38:39], v[118:119]
	v_fma_f64 v[118:119], v[211:212], s[38:39], -v[118:119]
	v_add_f64 v[157:158], v[157:158], v[106:107]
	v_fma_f64 v[106:107], v[191:192], s[30:31], v[153:154]
	v_fma_f64 v[149:150], v[199:200], s[22:23], -v[126:127]
	v_add_f64 v[92:93], v[116:117], v[92:93]
	v_add_f64 v[112:113], v[134:135], v[112:113]
	v_fma_f64 v[134:135], v[205:206], s[2:3], -v[161:162]
	v_fma_f64 v[161:162], v[205:206], s[2:3], v[161:162]
	v_add_f64 v[104:105], v[130:131], v[104:105]
	v_fma_f64 v[116:117], v[187:188], s[30:31], v[155:156]
	v_fma_f64 v[153:154], v[187:188], s[30:31], -v[155:156]
	v_mul_f64 v[155:156], v[221:222], s[10:11]
	v_fma_f64 v[126:127], v[199:200], s[22:23], v[126:127]
	v_add_f64 v[4:5], v[106:107], v[114:115]
	v_fma_f64 v[114:115], v[213:214], s[30:31], v[128:129]
	v_add_f64 v[128:129], v[149:150], v[102:103]
	v_fma_f64 v[149:150], v[213:214], s[38:39], v[132:133]
	v_fma_f64 v[102:103], v[213:214], s[38:39], -v[132:133]
	v_fma_f64 v[132:133], v[213:214], s[18:19], -v[159:160]
	v_fma_f64 v[106:107], v[199:200], s[2:3], -v[163:164]
	v_add_f64 v[92:93], v[116:117], v[92:93]
	v_fma_f64 v[116:117], v[199:200], s[2:3], v[163:164]
	v_add_f64 v[112:113], v[153:154], v[112:113]
	v_fma_f64 v[130:131], v[213:214], s[2:3], -v[155:156]
	v_fma_f64 v[153:154], v[213:214], s[8:9], -v[124:125]
	v_add_f64 v[134:135], v[134:135], v[94:95]
	v_add_f64 v[110:111], v[126:127], v[110:111]
	v_fma_f64 v[126:127], v[211:212], s[18:19], v[167:168]
	v_fma_f64 v[163:164], v[211:212], s[2:3], v[169:170]
	;; [unrolled: 1-line block ×3, first 2 shown]
	v_fma_f64 v[169:170], v[211:212], s[2:3], -v[169:170]
	v_fma_f64 v[159:160], v[213:214], s[18:19], v[159:160]
	v_fma_f64 v[167:168], v[211:212], s[18:19], -v[167:168]
	v_fma_f64 v[124:125], v[213:214], s[8:9], v[124:125]
	v_add_f64 v[161:162], v[161:162], v[4:5]
	v_add_f64 v[4:5], v[8:9], v[96:97]
	;; [unrolled: 1-line block ×5, first 2 shown]
	buffer_load_dword v1, off, s[60:63], 0 offset:88 ; 4-byte Folded Reload
	v_add_f64 v[92:93], v[116:117], v[92:93]
	v_fma_f64 v[116:117], v[211:212], s[8:9], v[165:166]
	v_fma_f64 v[165:166], v[211:212], s[8:9], -v[165:166]
	v_add_f64 v[177:178], v[106:107], v[112:113]
	v_add_f64 v[106:107], v[2:3], v[6:7]
	;; [unrolled: 1-line block ×9, first 2 shown]
	v_mov_b32_e32 v0, 4
	v_add_f64 v[114:115], v[149:150], v[193:194]
	v_add_f64 v[112:113], v[118:119], v[215:216]
	;; [unrolled: 1-line block ×10, first 2 shown]
	s_waitcnt vmcnt(0)
	v_lshlrev_b32_sdwa v0, v0, v1 dst_sel:DWORD dst_unused:UNUSED_PAD src0_sel:DWORD src1_sel:WORD_0
	ds_write_b128 v0, v[104:107]
	ds_write_b128 v0, v[100:103] offset:16
	ds_write_b128 v0, v[96:99] offset:32
	;; [unrolled: 1-line block ×16, first 2 shown]
.LBB0_17:
	s_or_b32 exec_lo, exec_lo, s1
	s_waitcnt lgkmcnt(0)
	s_barrier
	buffer_gl0_inv
	ds_read_b128 v[0:3], v255 offset:2992
	ds_read_b128 v[4:7], v255 offset:5984
	;; [unrolled: 1-line block ×7, first 2 shown]
	ds_read_b128 v[96:99], v255
	s_mov_b32 s2, 0x667f3bcd
	s_mov_b32 s3, 0xbfe6a09e
	s_mov_b32 s9, 0x3fe6a09e
	s_mov_b32 s8, s2
	s_waitcnt lgkmcnt(0)
	s_barrier
	buffer_gl0_inv
	v_mul_f64 v[100:101], v[62:63], v[2:3]
	v_mul_f64 v[62:63], v[62:63], v[0:1]
	;; [unrolled: 1-line block ×14, first 2 shown]
	v_fma_f64 v[0:1], v[60:61], v[0:1], v[100:101]
	v_fma_f64 v[2:3], v[60:61], v[2:3], -v[62:63]
	v_fma_f64 v[4:5], v[56:57], v[4:5], v[102:103]
	v_fma_f64 v[6:7], v[56:57], v[6:7], -v[58:59]
	;; [unrolled: 2-line block ×7, first 2 shown]
	v_add_f64 v[8:9], v[96:97], -v[8:9]
	v_add_f64 v[10:11], v[98:99], -v[10:11]
	;; [unrolled: 1-line block ×8, first 2 shown]
	v_fma_f64 v[56:57], v[96:97], 2.0, -v[8:9]
	v_fma_f64 v[58:59], v[98:99], 2.0, -v[10:11]
	v_fma_f64 v[4:5], v[4:5], 2.0, -v[12:13]
	v_fma_f64 v[6:7], v[6:7], 2.0, -v[14:15]
	v_fma_f64 v[0:1], v[0:1], 2.0, -v[16:17]
	v_fma_f64 v[2:3], v[2:3], 2.0, -v[18:19]
	v_add_f64 v[60:61], v[8:9], v[14:15]
	v_add_f64 v[62:63], v[10:11], -v[12:13]
	v_fma_f64 v[12:13], v[20:21], 2.0, -v[52:53]
	v_fma_f64 v[14:15], v[22:23], 2.0, -v[54:55]
	v_add_f64 v[20:21], v[16:17], v[54:55]
	v_add_f64 v[22:23], v[18:19], -v[52:53]
	v_add_f64 v[4:5], v[56:57], -v[4:5]
	;; [unrolled: 1-line block ×3, first 2 shown]
	v_fma_f64 v[68:69], v[8:9], 2.0, -v[60:61]
	v_fma_f64 v[70:71], v[10:11], 2.0, -v[62:63]
	v_add_f64 v[8:9], v[0:1], -v[12:13]
	v_add_f64 v[10:11], v[2:3], -v[14:15]
	v_fma_f64 v[14:15], v[16:17], 2.0, -v[20:21]
	v_fma_f64 v[12:13], v[18:19], 2.0, -v[22:23]
	v_fma_f64 v[52:53], v[20:21], s[8:9], v[60:61]
	v_fma_f64 v[54:55], v[22:23], s[8:9], v[62:63]
	v_fma_f64 v[56:57], v[56:57], 2.0, -v[4:5]
	v_fma_f64 v[58:59], v[58:59], 2.0, -v[6:7]
	;; [unrolled: 1-line block ×4, first 2 shown]
	v_fma_f64 v[72:73], v[14:15], s[2:3], v[68:69]
	v_fma_f64 v[74:75], v[12:13], s[2:3], v[70:71]
	v_add_f64 v[16:17], v[4:5], v[10:11]
	v_add_f64 v[18:19], v[6:7], -v[8:9]
	v_fma_f64 v[52:53], v[22:23], s[8:9], v[52:53]
	v_fma_f64 v[54:55], v[20:21], s[2:3], v[54:55]
	v_add_f64 v[8:9], v[56:57], -v[0:1]
	v_add_f64 v[10:11], v[58:59], -v[2:3]
	v_fma_f64 v[12:13], v[12:13], s[8:9], v[72:73]
	v_fma_f64 v[14:15], v[14:15], s[2:3], v[74:75]
	v_fma_f64 v[20:21], v[4:5], 2.0, -v[16:17]
	v_fma_f64 v[22:23], v[6:7], 2.0, -v[18:19]
	v_fma_f64 v[4:5], v[60:61], 2.0, -v[52:53]
	v_fma_f64 v[6:7], v[62:63], 2.0, -v[54:55]
	v_fma_f64 v[0:1], v[56:57], 2.0, -v[8:9]
	v_fma_f64 v[2:3], v[58:59], 2.0, -v[10:11]
	v_fma_f64 v[56:57], v[68:69], 2.0, -v[12:13]
	v_fma_f64 v[58:59], v[70:71], 2.0, -v[14:15]
	ds_write_b128 v148, v[16:19] offset:1632
	ds_write_b128 v148, v[52:55] offset:1904
	;; [unrolled: 1-line block ×6, first 2 shown]
	ds_write_b128 v148, v[0:3]
	ds_write_b128 v148, v[56:59] offset:272
	s_waitcnt lgkmcnt(0)
	s_barrier
	buffer_gl0_inv
	s_and_saveexec_b32 s1, s0
	s_cbranch_execz .LBB0_19
; %bb.18:
	ds_read_b128 v[0:3], v255
	ds_read_b128 v[56:59], v255 offset:2176
	ds_read_b128 v[20:23], v255 offset:4352
	;; [unrolled: 1-line block ×10, first 2 shown]
.LBB0_19:
	s_or_b32 exec_lo, exec_lo, s1
	s_and_saveexec_b32 s33, s0
	s_cbranch_execz .LBB0_21
; %bb.20:
	s_waitcnt lgkmcnt(9)
	v_mul_f64 v[60:61], v[66:67], v[58:59]
	s_waitcnt lgkmcnt(0)
	v_mul_f64 v[62:63], v[86:87], v[138:139]
	v_mul_f64 v[66:67], v[66:67], v[56:57]
	;; [unrolled: 1-line block ×15, first 2 shown]
	s_mov_b32 s24, 0xfd768dbf
	s_mov_b32 s25, 0xbfd207e7
	;; [unrolled: 1-line block ×6, first 2 shown]
	v_fma_f64 v[56:57], v[64:65], v[56:57], v[60:61]
	v_fma_f64 v[42:43], v[84:85], v[136:137], v[62:63]
	v_fma_f64 v[58:59], v[64:65], v[58:59], -v[66:67]
	v_fma_f64 v[46:47], v[84:85], v[138:139], -v[68:69]
	v_mul_f64 v[60:61], v[26:27], v[6:7]
	v_mul_f64 v[62:63], v[34:35], v[142:143]
	;; [unrolled: 1-line block ×4, first 2 shown]
	v_fma_f64 v[64:65], v[48:49], v[20:21], v[82:83]
	v_fma_f64 v[20:21], v[88:89], v[144:145], v[86:87]
	v_fma_f64 v[48:49], v[48:49], v[22:23], -v[50:51]
	v_fma_f64 v[22:23], v[88:89], v[146:147], -v[90:91]
	v_fma_f64 v[12:13], v[44:45], v[12:13], v[70:71]
	v_fma_f64 v[16:17], v[40:41], v[16:17], v[72:73]
	v_fma_f64 v[14:15], v[44:45], v[14:15], -v[74:75]
	v_fma_f64 v[18:19], v[40:41], v[18:19], -v[76:77]
	;; [unrolled: 4-line block ×3, first 2 shown]
	s_mov_b32 s11, 0x3fe14ced
	s_mov_b32 s21, 0xbfeeb42a
	;; [unrolled: 1-line block ×3, first 2 shown]
	v_add_f64 v[50:51], v[56:57], -v[42:43]
	v_add_f64 v[36:37], v[42:43], v[56:57]
	v_add_f64 v[66:67], v[58:59], -v[46:47]
	v_fma_f64 v[28:29], v[24:25], v[4:5], v[60:61]
	v_fma_f64 v[4:5], v[32:33], v[140:141], v[62:63]
	v_fma_f64 v[24:25], v[24:25], v[6:7], -v[26:27]
	v_fma_f64 v[6:7], v[32:33], v[142:143], -v[34:35]
	v_add_f64 v[34:35], v[46:47], v[58:59]
	v_add_f64 v[26:27], v[64:65], -v[20:21]
	v_add_f64 v[74:75], v[64:65], v[20:21]
	v_add_f64 v[32:33], v[48:49], -v[22:23]
	v_add_f64 v[62:63], v[48:49], v[22:23]
	s_mov_b32 s2, 0x7f775887
	s_mov_b32 s8, 0x8764f0ba
	;; [unrolled: 1-line block ×7, first 2 shown]
	v_add_f64 v[54:55], v[8:9], -v[40:41]
	v_add_f64 v[70:71], v[10:11], -v[30:31]
	s_mov_b32 s0, 0x640f44db
	v_mul_f64 v[38:39], v[50:51], s[24:25]
	v_mul_f64 v[96:97], v[50:51], s[16:17]
	;; [unrolled: 1-line block ×4, first 2 shown]
	v_add_f64 v[60:61], v[28:29], -v[4:5]
	v_add_f64 v[94:95], v[4:5], v[28:29]
	v_add_f64 v[72:73], v[24:25], -v[6:7]
	v_add_f64 v[88:89], v[6:7], v[24:25]
	v_mul_f64 v[76:77], v[26:27], s[10:11]
	v_mul_f64 v[122:123], v[50:51], s[18:19]
	;; [unrolled: 1-line block ×5, first 2 shown]
	s_mov_b32 s1, 0xbfc2375f
	s_mov_b32 s27, 0x3fed1bb4
	;; [unrolled: 1-line block ×7, first 2 shown]
	v_add_f64 v[58:59], v[2:3], v[58:59]
	v_add_f64 v[56:57], v[0:1], v[56:57]
	v_fma_f64 v[84:85], v[34:35], s[20:21], v[38:39]
	v_fma_f64 v[38:39], v[34:35], s[20:21], -v[38:39]
	v_fma_f64 v[86:87], v[36:37], s[20:21], -v[44:45]
	v_fma_f64 v[44:45], v[36:37], s[20:21], v[44:45]
	v_mul_f64 v[102:103], v[60:61], s[16:17]
	v_fma_f64 v[126:127], v[34:35], s[2:3], v[96:97]
	v_mul_f64 v[110:111], v[72:73], s[16:17]
	v_add_f64 v[82:83], v[30:31], v[10:11]
	v_fma_f64 v[112:113], v[62:63], s[8:9], v[76:77]
	v_fma_f64 v[76:77], v[62:63], s[8:9], -v[76:77]
	v_fma_f64 v[114:115], v[74:75], s[8:9], -v[78:79]
	v_fma_f64 v[78:79], v[74:75], s[8:9], v[78:79]
	v_add_f64 v[92:93], v[40:41], v[8:9]
	v_mul_f64 v[100:101], v[54:55], s[26:27]
	v_mul_f64 v[106:107], v[70:71], s[26:27]
	v_mul_f64 v[120:121], v[60:61], s[30:31]
	v_mul_f64 v[132:133], v[32:33], s[28:29]
	v_fma_f64 v[140:141], v[36:37], s[2:3], -v[108:109]
	v_fma_f64 v[96:97], v[34:35], s[2:3], -v[96:97]
	v_fma_f64 v[108:109], v[36:37], s[2:3], v[108:109]
	v_fma_f64 v[144:145], v[62:63], s[0:1], v[124:125]
	v_fma_f64 v[148:149], v[36:37], s[0:1], -v[134:135]
	v_add_f64 v[84:85], v[2:3], v[84:85]
	v_add_f64 v[38:39], v[2:3], v[38:39]
	;; [unrolled: 1-line block ×4, first 2 shown]
	v_fma_f64 v[138:139], v[88:89], s[2:3], v[102:103]
	v_fma_f64 v[102:103], v[88:89], s[2:3], -v[102:103]
	v_fma_f64 v[142:143], v[94:95], s[2:3], -v[110:111]
	v_fma_f64 v[110:111], v[94:95], s[2:3], v[110:111]
	v_add_f64 v[126:127], v[2:3], v[126:127]
	s_mov_b32 s22, 0xd9c712b6
	s_mov_b32 s23, 0x3fda9628
	v_add_f64 v[48:49], v[48:49], v[58:59]
	v_add_f64 v[56:57], v[64:65], v[56:57]
	v_mul_f64 v[118:119], v[54:55], s[24:25]
	v_mul_f64 v[130:131], v[72:73], s[30:31]
	;; [unrolled: 1-line block ×3, first 2 shown]
	v_fma_f64 v[58:59], v[82:83], s[22:23], v[100:101]
	v_fma_f64 v[146:147], v[92:93], s[22:23], -v[106:107]
	v_fma_f64 v[100:101], v[82:83], s[22:23], -v[100:101]
	v_fma_f64 v[150:151], v[74:75], s[0:1], -v[132:133]
	v_fma_f64 v[106:107], v[92:93], s[22:23], v[106:107]
	v_fma_f64 v[124:125], v[62:63], s[0:1], -v[124:125]
	v_add_f64 v[84:85], v[112:113], v[84:85]
	v_add_f64 v[38:39], v[76:77], v[38:39]
	;; [unrolled: 1-line block ×4, first 2 shown]
	v_mul_f64 v[76:77], v[26:27], s[34:35]
	v_mul_f64 v[112:113], v[32:33], s[34:35]
	v_fma_f64 v[114:115], v[34:35], s[0:1], v[122:123]
	v_mul_f64 v[78:79], v[72:73], s[26:27]
	v_fma_f64 v[132:133], v[74:75], s[0:1], v[132:133]
	v_add_f64 v[96:97], v[2:3], v[96:97]
	v_add_f64 v[108:109], v[0:1], v[108:109]
	;; [unrolled: 1-line block ×4, first 2 shown]
	v_add_f64 v[52:53], v[12:13], -v[16:17]
	v_add_f64 v[68:69], v[14:15], -v[18:19]
	v_add_f64 v[24:25], v[24:25], v[48:49]
	v_add_f64 v[28:29], v[28:29], v[56:57]
	v_mul_f64 v[128:129], v[70:71], s[24:25]
	v_add_f64 v[140:141], v[0:1], v[140:141]
	v_fma_f64 v[148:149], v[94:95], s[8:9], -v[130:131]
	v_fma_f64 v[130:131], v[94:95], s[8:9], v[130:131]
	v_fma_f64 v[122:123], v[34:35], s[0:1], -v[122:123]
	v_add_f64 v[84:85], v[138:139], v[84:85]
	v_add_f64 v[38:39], v[102:103], v[38:39]
	;; [unrolled: 1-line block ×4, first 2 shown]
	v_fma_f64 v[102:103], v[62:63], s[20:21], v[76:77]
	v_fma_f64 v[142:143], v[74:75], s[20:21], -v[112:113]
	v_add_f64 v[110:111], v[2:3], v[114:115]
	v_fma_f64 v[114:115], v[88:89], s[8:9], v[120:121]
	v_fma_f64 v[120:121], v[88:89], s[8:9], -v[120:121]
	v_add_f64 v[96:97], v[124:125], v[96:97]
	v_add_f64 v[108:109], v[132:133], v[108:109]
	v_fma_f64 v[132:133], v[94:95], s[22:23], -v[78:79]
	v_fma_f64 v[48:49], v[82:83], s[20:21], -v[118:119]
	v_mul_f64 v[116:117], v[52:53], s[26:27]
	v_fma_f64 v[76:77], v[62:63], s[20:21], -v[76:77]
	v_add_f64 v[10:11], v[10:11], v[24:25]
	v_add_f64 v[8:9], v[8:9], v[28:29]
	v_fma_f64 v[112:113], v[74:75], s[20:21], v[112:113]
	v_add_f64 v[140:141], v[150:151], v[140:141]
	v_mul_f64 v[24:25], v[66:67], s[30:31]
	v_add_f64 v[80:81], v[14:15], v[18:19]
	v_add_f64 v[90:91], v[12:13], v[16:17]
	;; [unrolled: 1-line block ×6, first 2 shown]
	v_mul_f64 v[86:87], v[54:55], s[30:31]
	v_fma_f64 v[100:101], v[36:37], s[0:1], v[134:135]
	v_fma_f64 v[106:107], v[88:89], s[22:23], v[136:137]
	v_add_f64 v[102:103], v[102:103], v[110:111]
	v_fma_f64 v[110:111], v[82:83], s[20:21], v[118:119]
	v_add_f64 v[114:115], v[114:115], v[126:127]
	v_mul_f64 v[126:127], v[70:71], s[30:31]
	v_add_f64 v[134:135], v[142:143], v[144:145]
	v_mul_f64 v[142:143], v[68:69], s[26:27]
	s_mov_b32 s27, 0xbfed1bb4
	v_fma_f64 v[144:145], v[92:93], s[20:21], -v[128:129]
	v_add_f64 v[56:57], v[120:121], v[96:97]
	v_fma_f64 v[96:97], v[92:93], s[20:21], v[128:129]
	v_add_f64 v[118:119], v[2:3], v[122:123]
	v_add_f64 v[108:109], v[130:131], v[108:109]
	v_mul_f64 v[28:29], v[66:67], s[26:27]
	v_add_f64 v[10:11], v[14:15], v[10:11]
	v_add_f64 v[8:9], v[12:13], v[8:9]
	;; [unrolled: 1-line block ×3, first 2 shown]
	v_fma_f64 v[78:79], v[94:95], s[22:23], v[78:79]
	v_fma_f64 v[12:13], v[36:37], s[8:9], v[24:25]
	;; [unrolled: 1-line block ×4, first 2 shown]
	v_add_f64 v[100:101], v[0:1], v[100:101]
	v_fma_f64 v[66:67], v[80:81], s[22:23], -v[116:117]
	v_add_f64 v[102:103], v[106:107], v[102:103]
	v_fma_f64 v[116:117], v[88:89], s[22:23], -v[136:137]
	v_add_f64 v[106:107], v[110:111], v[114:115]
	v_mul_f64 v[110:111], v[50:51], s[26:27]
	v_fma_f64 v[128:129], v[92:93], s[8:9], -v[126:127]
	v_add_f64 v[130:131], v[132:133], v[134:135]
	v_mul_f64 v[50:51], v[50:51], s[30:31]
	v_fma_f64 v[24:25], v[36:37], s[8:9], -v[24:25]
	v_fma_f64 v[132:133], v[90:91], s[22:23], -v[142:143]
	v_add_f64 v[48:49], v[48:49], v[56:57]
	v_add_f64 v[76:77], v[76:77], v[118:119]
	v_fma_f64 v[56:57], v[90:91], s[22:23], v[142:143]
	v_fma_f64 v[14:15], v[36:37], s[22:23], v[28:29]
	v_fma_f64 v[28:29], v[36:37], s[22:23], -v[28:29]
	v_add_f64 v[10:11], v[18:19], v[10:11]
	v_add_f64 v[8:9], v[16:17], v[8:9]
	;; [unrolled: 1-line block ×3, first 2 shown]
	v_mul_f64 v[36:37], v[60:61], s[34:35]
	v_mul_f64 v[60:61], v[60:61], s[18:19]
	v_add_f64 v[12:13], v[0:1], v[12:13]
	v_add_f64 v[100:101], v[112:113], v[100:101]
	v_mul_f64 v[112:113], v[26:27], s[16:17]
	v_add_f64 v[102:103], v[122:123], v[102:103]
	v_mul_f64 v[122:123], v[32:33], s[16:17]
	v_mul_f64 v[26:27], v[26:27], s[26:27]
	v_fma_f64 v[118:119], v[34:35], s[22:23], -v[110:111]
	v_mul_f64 v[32:33], v[32:33], s[26:27]
	v_add_f64 v[128:129], v[128:129], v[130:131]
	v_fma_f64 v[130:131], v[34:35], s[8:9], -v[50:51]
	v_fma_f64 v[110:111], v[34:35], s[22:23], v[110:111]
	v_fma_f64 v[34:35], v[34:35], s[8:9], v[50:51]
	v_mul_f64 v[120:121], v[52:53], s[16:17]
	v_add_f64 v[76:77], v[116:117], v[76:77]
	v_fma_f64 v[116:117], v[92:93], s[8:9], v[126:127]
	v_add_f64 v[14:15], v[0:1], v[14:15]
	v_add_f64 v[28:29], v[0:1], v[28:29]
	;; [unrolled: 1-line block ×5, first 2 shown]
	v_mul_f64 v[24:25], v[54:55], s[28:29]
	v_mul_f64 v[54:55], v[54:55], s[16:17]
	v_fma_f64 v[30:31], v[88:89], s[20:21], v[36:37]
	v_add_f64 v[50:51], v[78:79], v[100:101]
	v_mul_f64 v[78:79], v[72:73], s[34:35]
	v_fma_f64 v[100:101], v[62:63], s[2:3], -v[112:113]
	v_mul_f64 v[72:73], v[72:73], s[18:19]
	v_fma_f64 v[140:141], v[62:63], s[22:23], -v[26:27]
	v_add_f64 v[118:119], v[2:3], v[118:119]
	v_fma_f64 v[142:143], v[74:75], s[22:23], v[32:33]
	v_fma_f64 v[126:127], v[74:75], s[2:3], v[122:123]
	v_add_f64 v[130:131], v[2:3], v[130:131]
	v_fma_f64 v[16:17], v[62:63], s[2:3], v[112:113]
	v_add_f64 v[18:19], v[2:3], v[110:111]
	v_fma_f64 v[110:111], v[74:75], s[2:3], -v[122:123]
	v_fma_f64 v[26:27], v[62:63], s[22:23], v[26:27]
	v_add_f64 v[2:3], v[2:3], v[34:35]
	v_fma_f64 v[32:33], v[74:75], s[22:23], -v[32:33]
	v_mul_f64 v[34:35], v[70:71], s[28:29]
	v_fma_f64 v[62:63], v[88:89], s[20:21], -v[36:37]
	v_mul_f64 v[70:71], v[70:71], s[16:17]
	v_fma_f64 v[112:113], v[88:89], s[0:1], -v[60:61]
	v_fma_f64 v[36:37], v[88:89], s[0:1], v[60:61]
	v_fma_f64 v[86:87], v[82:83], s[8:9], -v[86:87]
	v_add_f64 v[6:7], v[6:7], v[10:11]
	v_add_f64 v[4:5], v[4:5], v[8:9]
	v_mul_f64 v[98:99], v[52:53], s[18:19]
	v_mul_f64 v[104:105], v[68:69], s[18:19]
	v_fma_f64 v[122:123], v[94:95], s[0:1], v[72:73]
	v_mul_f64 v[114:115], v[68:69], s[16:17]
	v_add_f64 v[74:75], v[100:101], v[118:119]
	v_add_f64 v[12:13], v[142:143], v[12:13]
	v_fma_f64 v[100:101], v[94:95], s[20:21], v[78:79]
	v_add_f64 v[118:119], v[140:141], v[130:131]
	v_add_f64 v[14:15], v[126:127], v[14:15]
	;; [unrolled: 1-line block ×3, first 2 shown]
	v_fma_f64 v[18:19], v[94:95], s[20:21], -v[78:79]
	v_add_f64 v[28:29], v[110:111], v[28:29]
	v_add_f64 v[2:3], v[26:27], v[2:3]
	v_fma_f64 v[26:27], v[94:95], s[0:1], -v[72:73]
	v_add_f64 v[0:1], v[32:33], v[0:1]
	v_mul_f64 v[32:33], v[52:53], s[10:11]
	v_mul_f64 v[40:41], v[68:69], s[10:11]
	v_fma_f64 v[60:61], v[82:83], s[0:1], -v[24:25]
	v_mul_f64 v[52:53], v[52:53], s[24:25]
	v_mul_f64 v[68:69], v[68:69], s[24:25]
	v_fma_f64 v[88:89], v[92:93], s[2:3], v[70:71]
	v_fma_f64 v[72:73], v[92:93], s[0:1], v[34:35]
	v_add_f64 v[20:21], v[20:21], v[4:5]
	v_add_f64 v[96:97], v[96:97], v[108:109]
	v_fma_f64 v[64:65], v[80:81], s[0:1], v[98:99]
	v_fma_f64 v[138:139], v[90:91], s[0:1], -v[104:105]
	v_add_f64 v[62:63], v[62:63], v[74:75]
	v_fma_f64 v[74:75], v[82:83], s[2:3], -v[54:55]
	v_add_f64 v[8:9], v[122:123], v[12:13]
	v_add_f64 v[78:79], v[112:113], v[118:119]
	;; [unrolled: 1-line block ×3, first 2 shown]
	v_fma_f64 v[12:13], v[82:83], s[0:1], v[24:25]
	v_add_f64 v[14:15], v[30:31], v[16:17]
	v_fma_f64 v[16:17], v[92:93], s[0:1], -v[34:35]
	v_add_f64 v[18:19], v[18:19], v[28:29]
	v_fma_f64 v[24:25], v[82:83], s[2:3], v[54:55]
	v_add_f64 v[2:3], v[36:37], v[2:3]
	v_fma_f64 v[28:29], v[92:93], s[2:3], -v[70:71]
	v_add_f64 v[0:1], v[26:27], v[0:1]
	v_fma_f64 v[26:27], v[80:81], s[2:3], -v[120:121]
	v_add_f64 v[30:31], v[86:87], v[76:77]
	v_add_f64 v[76:77], v[22:23], v[6:7]
	;; [unrolled: 1-line block ×3, first 2 shown]
	v_fma_f64 v[50:51], v[80:81], s[8:9], -v[32:33]
	v_fma_f64 v[34:35], v[90:91], s[2:3], v[114:115]
	v_fma_f64 v[98:99], v[80:81], s[0:1], -v[98:99]
	v_fma_f64 v[104:105], v[90:91], s[0:1], v[104:105]
	v_fma_f64 v[108:109], v[80:81], s[2:3], v[120:121]
	v_add_f64 v[54:55], v[60:61], v[62:63]
	v_fma_f64 v[62:63], v[80:81], s[20:21], -v[52:53]
	v_fma_f64 v[60:61], v[90:91], s[8:9], v[40:41]
	v_add_f64 v[70:71], v[74:75], v[78:79]
	v_fma_f64 v[74:75], v[90:91], s[20:21], v[68:69]
	v_add_f64 v[78:79], v[88:89], v[8:9]
	v_add_f64 v[72:73], v[72:73], v[10:11]
	v_fma_f64 v[136:137], v[90:91], s[2:3], -v[114:115]
	v_fma_f64 v[82:83], v[80:81], s[8:9], v[32:33]
	v_add_f64 v[86:87], v[12:13], v[14:15]
	v_fma_f64 v[40:41], v[90:91], s[8:9], -v[40:41]
	v_add_f64 v[88:89], v[16:17], v[18:19]
	v_fma_f64 v[52:53], v[80:81], s[20:21], v[52:53]
	v_add_f64 v[80:81], v[24:25], v[2:3]
	v_fma_f64 v[68:69], v[90:91], s[20:21], -v[68:69]
	v_add_f64 v[90:91], v[28:29], v[0:1]
	v_add_f64 v[18:19], v[26:27], v[30:31]
	;; [unrolled: 1-line block ×23, first 2 shown]
	ds_write_b128 v255, v[28:31]
	ds_write_b128 v255, v[24:27] offset:2176
	ds_write_b128 v255, v[20:23] offset:4352
	;; [unrolled: 1-line block ×10, first 2 shown]
.LBB0_21:
	s_or_b32 exec_lo, exec_lo, s33
	s_waitcnt lgkmcnt(0)
	s_barrier
	buffer_gl0_inv
	s_and_b32 exec_lo, exec_lo, vcc_lo
	s_cbranch_execz .LBB0_23
; %bb.22:
	global_load_dwordx4 v[0:3], v255, s[12:13]
	ds_read_b128 v[4:7], v255
	ds_read_b128 v[8:11], v255 offset:1408
	ds_read_b128 v[12:15], v255 offset:22528
	s_clause 0x1
	buffer_load_dword v18, off, s[60:63], 0 offset:64
	buffer_load_dword v19, off, s[60:63], 0 offset:68
	s_mov_b32 s0, 0xb8d015e7
	s_mov_b32 s1, 0x3f45e75b
	v_add_co_u32 v24, s2, s12, v255
	v_add_co_ci_u32_e64 v25, null, s13, 0, s2
	s_mul_i32 s2, s5, 0x580
	s_mul_hi_u32 s3, s4, 0x580
	s_add_i32 s3, s3, s2
	s_waitcnt vmcnt(2) lgkmcnt(2)
	v_mul_f64 v[16:17], v[6:7], v[2:3]
	v_mul_f64 v[2:3], v[4:5], v[2:3]
	s_waitcnt vmcnt(1)
	v_mov_b32_e32 v20, v18
	s_waitcnt vmcnt(0)
	v_mad_u64_u32 v[18:19], null, s6, v20, 0
	s_mul_i32 s6, s4, 0x580
	v_fma_f64 v[4:5], v[4:5], v[0:1], v[16:17]
	v_fma_f64 v[2:3], v[0:1], v[6:7], -v[2:3]
	v_mad_u64_u32 v[6:7], null, s4, v252, 0
	v_mov_b32_e32 v0, v19
	v_mov_b32_e32 v1, v7
	v_mad_u64_u32 v[16:17], null, s7, v20, v[0:1]
	v_mov_b32_e32 v19, v16
	v_mad_u64_u32 v[20:21], null, s5, v252, v[1:2]
	v_mul_f64 v[0:1], v[4:5], s[0:1]
	v_mul_f64 v[2:3], v[2:3], s[0:1]
	v_lshlrev_b64 v[4:5], 4, v[18:19]
	v_mov_b32_e32 v7, v20
	v_add_co_u32 v22, vcc_lo, s14, v4
	v_add_co_ci_u32_e32 v23, vcc_lo, s15, v5, vcc_lo
	v_lshlrev_b64 v[6:7], 4, v[6:7]
	v_add_co_u32 v4, vcc_lo, v22, v6
	v_add_co_ci_u32_e32 v5, vcc_lo, v23, v7, vcc_lo
	v_add_co_u32 v16, vcc_lo, v4, s6
	global_store_dwordx4 v[4:5], v[0:3], off
	global_load_dwordx4 v[0:3], v255, s[12:13] offset:1408
	v_add_co_ci_u32_e32 v17, vcc_lo, s3, v5, vcc_lo
	v_add_co_u32 v4, vcc_lo, 0x800, v24
	v_add_co_ci_u32_e32 v5, vcc_lo, 0, v25, vcc_lo
	s_waitcnt vmcnt(0) lgkmcnt(1)
	v_mul_f64 v[6:7], v[10:11], v[2:3]
	v_mul_f64 v[2:3], v[8:9], v[2:3]
	v_fma_f64 v[6:7], v[8:9], v[0:1], v[6:7]
	v_fma_f64 v[2:3], v[0:1], v[10:11], -v[2:3]
	v_mul_f64 v[0:1], v[6:7], s[0:1]
	v_mul_f64 v[2:3], v[2:3], s[0:1]
	global_store_dwordx4 v[16:17], v[0:3], off
	global_load_dwordx4 v[0:3], v[4:5], off offset:768
	ds_read_b128 v[4:7], v255 offset:2816
	ds_read_b128 v[8:11], v255 offset:4224
	s_waitcnt vmcnt(0) lgkmcnt(1)
	v_mul_f64 v[18:19], v[6:7], v[2:3]
	v_mul_f64 v[2:3], v[4:5], v[2:3]
	v_fma_f64 v[4:5], v[4:5], v[0:1], v[18:19]
	v_fma_f64 v[2:3], v[0:1], v[6:7], -v[2:3]
	v_mul_f64 v[0:1], v[4:5], s[0:1]
	v_mul_f64 v[2:3], v[2:3], s[0:1]
	v_add_co_u32 v4, vcc_lo, v16, s6
	v_add_co_ci_u32_e32 v5, vcc_lo, s3, v17, vcc_lo
	v_add_co_u32 v6, vcc_lo, 0x1000, v24
	v_add_co_ci_u32_e32 v7, vcc_lo, 0, v25, vcc_lo
	global_store_dwordx4 v[4:5], v[0:3], off
	global_load_dwordx4 v[0:3], v[6:7], off offset:128
	s_waitcnt vmcnt(0) lgkmcnt(0)
	v_mul_f64 v[16:17], v[10:11], v[2:3]
	v_mul_f64 v[2:3], v[8:9], v[2:3]
	v_fma_f64 v[8:9], v[8:9], v[0:1], v[16:17]
	v_fma_f64 v[2:3], v[0:1], v[10:11], -v[2:3]
	v_add_co_u32 v16, vcc_lo, v4, s6
	v_add_co_ci_u32_e32 v17, vcc_lo, s3, v5, vcc_lo
	v_mul_f64 v[0:1], v[8:9], s[0:1]
	v_mul_f64 v[2:3], v[2:3], s[0:1]
	global_store_dwordx4 v[16:17], v[0:3], off
	global_load_dwordx4 v[0:3], v[6:7], off offset:1536
	ds_read_b128 v[4:7], v255 offset:5632
	ds_read_b128 v[8:11], v255 offset:7040
	s_waitcnt vmcnt(0) lgkmcnt(1)
	v_mul_f64 v[18:19], v[6:7], v[2:3]
	v_mul_f64 v[2:3], v[4:5], v[2:3]
	v_fma_f64 v[4:5], v[4:5], v[0:1], v[18:19]
	v_fma_f64 v[2:3], v[0:1], v[6:7], -v[2:3]
	v_mul_f64 v[0:1], v[4:5], s[0:1]
	v_mul_f64 v[2:3], v[2:3], s[0:1]
	v_add_co_u32 v4, vcc_lo, v16, s6
	v_add_co_ci_u32_e32 v5, vcc_lo, s3, v17, vcc_lo
	v_add_co_u32 v6, vcc_lo, 0x1800, v24
	v_add_co_ci_u32_e32 v7, vcc_lo, 0, v25, vcc_lo
	;; [unrolled: 2-line block ×4, first 2 shown]
	global_store_dwordx4 v[4:5], v[0:3], off
	global_load_dwordx4 v[0:3], v[6:7], off offset:896
	s_waitcnt vmcnt(0) lgkmcnt(0)
	v_mul_f64 v[6:7], v[10:11], v[2:3]
	v_mul_f64 v[2:3], v[8:9], v[2:3]
	v_fma_f64 v[6:7], v[8:9], v[0:1], v[6:7]
	v_fma_f64 v[2:3], v[0:1], v[10:11], -v[2:3]
	v_mul_f64 v[0:1], v[6:7], s[0:1]
	v_mul_f64 v[2:3], v[2:3], s[0:1]
	global_store_dwordx4 v[16:17], v[0:3], off
	global_load_dwordx4 v[0:3], v[18:19], off offset:256
	ds_read_b128 v[4:7], v255 offset:8448
	ds_read_b128 v[8:11], v255 offset:9856
	s_waitcnt vmcnt(0) lgkmcnt(1)
	v_mul_f64 v[20:21], v[6:7], v[2:3]
	v_mul_f64 v[2:3], v[4:5], v[2:3]
	v_fma_f64 v[4:5], v[4:5], v[0:1], v[20:21]
	v_fma_f64 v[2:3], v[0:1], v[6:7], -v[2:3]
	v_mul_f64 v[0:1], v[4:5], s[0:1]
	v_mul_f64 v[2:3], v[2:3], s[0:1]
	v_add_co_u32 v4, vcc_lo, v16, s6
	v_add_co_ci_u32_e32 v5, vcc_lo, s3, v17, vcc_lo
	v_add_co_u32 v16, vcc_lo, v4, s6
	v_add_co_ci_u32_e32 v17, vcc_lo, s3, v5, vcc_lo
	global_store_dwordx4 v[4:5], v[0:3], off
	global_load_dwordx4 v[0:3], v[18:19], off offset:1664
	v_add_co_u32 v4, vcc_lo, 0x2800, v24
	v_add_co_ci_u32_e32 v5, vcc_lo, 0, v25, vcc_lo
	s_waitcnt vmcnt(0) lgkmcnt(0)
	v_mul_f64 v[6:7], v[10:11], v[2:3]
	v_mul_f64 v[2:3], v[8:9], v[2:3]
	v_fma_f64 v[6:7], v[8:9], v[0:1], v[6:7]
	v_fma_f64 v[2:3], v[0:1], v[10:11], -v[2:3]
	v_mul_f64 v[0:1], v[6:7], s[0:1]
	v_mul_f64 v[2:3], v[2:3], s[0:1]
	global_store_dwordx4 v[16:17], v[0:3], off
	global_load_dwordx4 v[0:3], v[4:5], off offset:1024
	ds_read_b128 v[4:7], v255 offset:11264
	ds_read_b128 v[8:11], v255 offset:12672
	s_waitcnt vmcnt(0) lgkmcnt(1)
	v_mul_f64 v[18:19], v[6:7], v[2:3]
	v_mul_f64 v[2:3], v[4:5], v[2:3]
	v_fma_f64 v[4:5], v[4:5], v[0:1], v[18:19]
	v_fma_f64 v[2:3], v[0:1], v[6:7], -v[2:3]
	v_mul_f64 v[0:1], v[4:5], s[0:1]
	v_mul_f64 v[2:3], v[2:3], s[0:1]
	v_add_co_u32 v4, vcc_lo, v16, s6
	v_add_co_ci_u32_e32 v5, vcc_lo, s3, v17, vcc_lo
	v_add_co_u32 v6, vcc_lo, 0x3000, v24
	v_add_co_ci_u32_e32 v7, vcc_lo, 0, v25, vcc_lo
	global_store_dwordx4 v[4:5], v[0:3], off
	global_load_dwordx4 v[0:3], v[6:7], off offset:384
	s_waitcnt vmcnt(0) lgkmcnt(0)
	v_mul_f64 v[16:17], v[10:11], v[2:3]
	v_mul_f64 v[2:3], v[8:9], v[2:3]
	v_fma_f64 v[8:9], v[8:9], v[0:1], v[16:17]
	v_fma_f64 v[2:3], v[0:1], v[10:11], -v[2:3]
	v_add_co_u32 v16, vcc_lo, v4, s6
	v_add_co_ci_u32_e32 v17, vcc_lo, s3, v5, vcc_lo
	v_mul_f64 v[0:1], v[8:9], s[0:1]
	v_mul_f64 v[2:3], v[2:3], s[0:1]
	global_store_dwordx4 v[16:17], v[0:3], off
	global_load_dwordx4 v[0:3], v[6:7], off offset:1792
	ds_read_b128 v[4:7], v255 offset:14080
	ds_read_b128 v[8:11], v255 offset:15488
	s_waitcnt vmcnt(0) lgkmcnt(1)
	v_mul_f64 v[18:19], v[6:7], v[2:3]
	v_mul_f64 v[2:3], v[4:5], v[2:3]
	v_fma_f64 v[4:5], v[4:5], v[0:1], v[18:19]
	v_fma_f64 v[2:3], v[0:1], v[6:7], -v[2:3]
	v_mul_f64 v[0:1], v[4:5], s[0:1]
	v_mul_f64 v[2:3], v[2:3], s[0:1]
	v_add_co_u32 v4, vcc_lo, v16, s6
	v_add_co_ci_u32_e32 v5, vcc_lo, s3, v17, vcc_lo
	v_add_co_u32 v6, vcc_lo, 0x3800, v24
	v_add_co_ci_u32_e32 v7, vcc_lo, 0, v25, vcc_lo
	;; [unrolled: 2-line block ×4, first 2 shown]
	global_store_dwordx4 v[4:5], v[0:3], off
	global_load_dwordx4 v[0:3], v[6:7], off offset:1152
	s_waitcnt vmcnt(0) lgkmcnt(0)
	v_mul_f64 v[6:7], v[10:11], v[2:3]
	v_mul_f64 v[2:3], v[8:9], v[2:3]
	v_fma_f64 v[6:7], v[8:9], v[0:1], v[6:7]
	v_fma_f64 v[2:3], v[0:1], v[10:11], -v[2:3]
	v_mul_f64 v[0:1], v[6:7], s[0:1]
	v_mul_f64 v[2:3], v[2:3], s[0:1]
	global_store_dwordx4 v[16:17], v[0:3], off
	global_load_dwordx4 v[0:3], v[18:19], off offset:512
	ds_read_b128 v[4:7], v255 offset:16896
	ds_read_b128 v[8:11], v255 offset:18304
	s_waitcnt vmcnt(0) lgkmcnt(1)
	v_mul_f64 v[20:21], v[6:7], v[2:3]
	v_mul_f64 v[2:3], v[4:5], v[2:3]
	v_fma_f64 v[4:5], v[4:5], v[0:1], v[20:21]
	v_fma_f64 v[2:3], v[0:1], v[6:7], -v[2:3]
	v_mul_f64 v[0:1], v[4:5], s[0:1]
	v_mul_f64 v[2:3], v[2:3], s[0:1]
	v_add_co_u32 v4, vcc_lo, v16, s6
	v_add_co_ci_u32_e32 v5, vcc_lo, s3, v17, vcc_lo
	v_add_co_u32 v16, vcc_lo, v4, s6
	v_add_co_ci_u32_e32 v17, vcc_lo, s3, v5, vcc_lo
	global_store_dwordx4 v[4:5], v[0:3], off
	global_load_dwordx4 v[0:3], v[18:19], off offset:1920
	v_add_co_u32 v4, vcc_lo, 0x4800, v24
	v_add_co_ci_u32_e32 v5, vcc_lo, 0, v25, vcc_lo
	s_waitcnt vmcnt(0) lgkmcnt(0)
	v_mul_f64 v[6:7], v[10:11], v[2:3]
	v_mul_f64 v[2:3], v[8:9], v[2:3]
	v_fma_f64 v[6:7], v[8:9], v[0:1], v[6:7]
	v_fma_f64 v[2:3], v[0:1], v[10:11], -v[2:3]
	v_mul_f64 v[0:1], v[6:7], s[0:1]
	v_mul_f64 v[2:3], v[2:3], s[0:1]
	global_store_dwordx4 v[16:17], v[0:3], off
	global_load_dwordx4 v[0:3], v[4:5], off offset:1280
	ds_read_b128 v[4:7], v255 offset:19712
	ds_read_b128 v[8:11], v255 offset:21120
	s_waitcnt vmcnt(0) lgkmcnt(1)
	v_mul_f64 v[18:19], v[6:7], v[2:3]
	v_mul_f64 v[2:3], v[4:5], v[2:3]
	v_fma_f64 v[4:5], v[4:5], v[0:1], v[18:19]
	v_fma_f64 v[2:3], v[0:1], v[6:7], -v[2:3]
	v_mul_f64 v[0:1], v[4:5], s[0:1]
	v_mul_f64 v[2:3], v[2:3], s[0:1]
	v_add_co_u32 v4, vcc_lo, v16, s6
	v_add_co_ci_u32_e32 v5, vcc_lo, s3, v17, vcc_lo
	v_add_co_u32 v6, vcc_lo, 0x5000, v24
	v_add_co_ci_u32_e32 v7, vcc_lo, 0, v25, vcc_lo
	global_store_dwordx4 v[4:5], v[0:3], off
	global_load_dwordx4 v[0:3], v[6:7], off offset:640
	v_add_co_u32 v4, vcc_lo, v4, s6
	v_add_co_ci_u32_e32 v5, vcc_lo, s3, v5, vcc_lo
	s_waitcnt vmcnt(0) lgkmcnt(0)
	v_mul_f64 v[6:7], v[10:11], v[2:3]
	v_mul_f64 v[2:3], v[8:9], v[2:3]
	v_fma_f64 v[6:7], v[8:9], v[0:1], v[6:7]
	v_fma_f64 v[2:3], v[0:1], v[10:11], -v[2:3]
	v_mul_f64 v[0:1], v[6:7], s[0:1]
	v_mul_f64 v[2:3], v[2:3], s[0:1]
	v_lshlrev_b32_e32 v6, 4, v251
	global_store_dwordx4 v[4:5], v[0:3], off
	global_load_dwordx4 v[0:3], v6, s[12:13]
	v_mad_u64_u32 v[6:7], null, s4, v251, 0
	s_waitcnt vmcnt(0)
	v_mul_f64 v[4:5], v[14:15], v[2:3]
	v_mul_f64 v[2:3], v[12:13], v[2:3]
	v_fma_f64 v[4:5], v[12:13], v[0:1], v[4:5]
	v_fma_f64 v[2:3], v[0:1], v[14:15], -v[2:3]
	v_mov_b32_e32 v0, v7
	v_mad_u64_u32 v[7:8], null, s5, v251, v[0:1]
	v_mul_f64 v[0:1], v[4:5], s[0:1]
	v_mul_f64 v[2:3], v[2:3], s[0:1]
	v_lshlrev_b64 v[4:5], 4, v[6:7]
	v_add_co_u32 v4, vcc_lo, v22, v4
	v_add_co_ci_u32_e32 v5, vcc_lo, v23, v5, vcc_lo
	global_store_dwordx4 v[4:5], v[0:3], off
.LBB0_23:
	s_endpgm
	.section	.rodata,"a",@progbits
	.p2align	6, 0x0
	.amdhsa_kernel bluestein_single_fwd_len1496_dim1_dp_op_CI_CI
		.amdhsa_group_segment_fixed_size 23936
		.amdhsa_private_segment_fixed_size 536
		.amdhsa_kernarg_size 104
		.amdhsa_user_sgpr_count 6
		.amdhsa_user_sgpr_private_segment_buffer 1
		.amdhsa_user_sgpr_dispatch_ptr 0
		.amdhsa_user_sgpr_queue_ptr 0
		.amdhsa_user_sgpr_kernarg_segment_ptr 1
		.amdhsa_user_sgpr_dispatch_id 0
		.amdhsa_user_sgpr_flat_scratch_init 0
		.amdhsa_user_sgpr_private_segment_size 0
		.amdhsa_wavefront_size32 1
		.amdhsa_uses_dynamic_stack 0
		.amdhsa_system_sgpr_private_segment_wavefront_offset 1
		.amdhsa_system_sgpr_workgroup_id_x 1
		.amdhsa_system_sgpr_workgroup_id_y 0
		.amdhsa_system_sgpr_workgroup_id_z 0
		.amdhsa_system_sgpr_workgroup_info 0
		.amdhsa_system_vgpr_workitem_id 0
		.amdhsa_next_free_vgpr 256
		.amdhsa_next_free_sgpr 64
		.amdhsa_reserve_vcc 1
		.amdhsa_reserve_flat_scratch 0
		.amdhsa_float_round_mode_32 0
		.amdhsa_float_round_mode_16_64 0
		.amdhsa_float_denorm_mode_32 3
		.amdhsa_float_denorm_mode_16_64 3
		.amdhsa_dx10_clamp 1
		.amdhsa_ieee_mode 1
		.amdhsa_fp16_overflow 0
		.amdhsa_workgroup_processor_mode 1
		.amdhsa_memory_ordered 1
		.amdhsa_forward_progress 0
		.amdhsa_shared_vgpr_count 0
		.amdhsa_exception_fp_ieee_invalid_op 0
		.amdhsa_exception_fp_denorm_src 0
		.amdhsa_exception_fp_ieee_div_zero 0
		.amdhsa_exception_fp_ieee_overflow 0
		.amdhsa_exception_fp_ieee_underflow 0
		.amdhsa_exception_fp_ieee_inexact 0
		.amdhsa_exception_int_div_zero 0
	.end_amdhsa_kernel
	.text
.Lfunc_end0:
	.size	bluestein_single_fwd_len1496_dim1_dp_op_CI_CI, .Lfunc_end0-bluestein_single_fwd_len1496_dim1_dp_op_CI_CI
                                        ; -- End function
	.section	.AMDGPU.csdata,"",@progbits
; Kernel info:
; codeLenInByte = 30216
; NumSgprs: 66
; NumVgprs: 256
; ScratchSize: 536
; MemoryBound: 0
; FloatMode: 240
; IeeeMode: 1
; LDSByteSize: 23936 bytes/workgroup (compile time only)
; SGPRBlocks: 8
; VGPRBlocks: 31
; NumSGPRsForWavesPerEU: 66
; NumVGPRsForWavesPerEU: 256
; Occupancy: 4
; WaveLimiterHint : 1
; COMPUTE_PGM_RSRC2:SCRATCH_EN: 1
; COMPUTE_PGM_RSRC2:USER_SGPR: 6
; COMPUTE_PGM_RSRC2:TRAP_HANDLER: 0
; COMPUTE_PGM_RSRC2:TGID_X_EN: 1
; COMPUTE_PGM_RSRC2:TGID_Y_EN: 0
; COMPUTE_PGM_RSRC2:TGID_Z_EN: 0
; COMPUTE_PGM_RSRC2:TIDIG_COMP_CNT: 0
	.text
	.p2alignl 6, 3214868480
	.fill 48, 4, 3214868480
	.type	__hip_cuid_8a47858ba5a877fb,@object ; @__hip_cuid_8a47858ba5a877fb
	.section	.bss,"aw",@nobits
	.globl	__hip_cuid_8a47858ba5a877fb
__hip_cuid_8a47858ba5a877fb:
	.byte	0                               ; 0x0
	.size	__hip_cuid_8a47858ba5a877fb, 1

	.ident	"AMD clang version 19.0.0git (https://github.com/RadeonOpenCompute/llvm-project roc-6.4.0 25133 c7fe45cf4b819c5991fe208aaa96edf142730f1d)"
	.section	".note.GNU-stack","",@progbits
	.addrsig
	.addrsig_sym __hip_cuid_8a47858ba5a877fb
	.amdgpu_metadata
---
amdhsa.kernels:
  - .args:
      - .actual_access:  read_only
        .address_space:  global
        .offset:         0
        .size:           8
        .value_kind:     global_buffer
      - .actual_access:  read_only
        .address_space:  global
        .offset:         8
        .size:           8
        .value_kind:     global_buffer
      - .actual_access:  read_only
        .address_space:  global
        .offset:         16
        .size:           8
        .value_kind:     global_buffer
      - .actual_access:  read_only
        .address_space:  global
        .offset:         24
        .size:           8
        .value_kind:     global_buffer
      - .actual_access:  read_only
        .address_space:  global
        .offset:         32
        .size:           8
        .value_kind:     global_buffer
      - .offset:         40
        .size:           8
        .value_kind:     by_value
      - .address_space:  global
        .offset:         48
        .size:           8
        .value_kind:     global_buffer
      - .address_space:  global
        .offset:         56
        .size:           8
        .value_kind:     global_buffer
      - .address_space:  global
        .offset:         64
        .size:           8
        .value_kind:     global_buffer
      - .address_space:  global
        .offset:         72
        .size:           8
        .value_kind:     global_buffer
      - .offset:         80
        .size:           4
        .value_kind:     by_value
      - .address_space:  global
        .offset:         88
        .size:           8
        .value_kind:     global_buffer
      - .address_space:  global
        .offset:         96
        .size:           8
        .value_kind:     global_buffer
    .group_segment_fixed_size: 23936
    .kernarg_segment_align: 8
    .kernarg_segment_size: 104
    .language:       OpenCL C
    .language_version:
      - 2
      - 0
    .max_flat_workgroup_size: 187
    .name:           bluestein_single_fwd_len1496_dim1_dp_op_CI_CI
    .private_segment_fixed_size: 536
    .sgpr_count:     66
    .sgpr_spill_count: 0
    .symbol:         bluestein_single_fwd_len1496_dim1_dp_op_CI_CI.kd
    .uniform_work_group_size: 1
    .uses_dynamic_stack: false
    .vgpr_count:     256
    .vgpr_spill_count: 157
    .wavefront_size: 32
    .workgroup_processor_mode: 1
amdhsa.target:   amdgcn-amd-amdhsa--gfx1030
amdhsa.version:
  - 1
  - 2
...

	.end_amdgpu_metadata
